;; amdgpu-corpus repo=pytorch/pytorch kind=compiled arch=gfx950 opt=O3
	.amdgcn_target "amdgcn-amd-amdhsa--gfx950"
	.amdhsa_code_object_version 6
	.section	.text._ZN12_GLOBAL__N_141elementwise_kernel_with_index_grid_strideIiZZZN2at6native17linspace_cuda_outERKN3c106ScalarES6_lRNS1_6TensorEENKUlvE_clEvENKUlvE_clEvEUllE_EEvT_T0_PN15function_traitsISD_E11result_typeE,"axG",@progbits,_ZN12_GLOBAL__N_141elementwise_kernel_with_index_grid_strideIiZZZN2at6native17linspace_cuda_outERKN3c106ScalarES6_lRNS1_6TensorEENKUlvE_clEvENKUlvE_clEvEUllE_EEvT_T0_PN15function_traitsISD_E11result_typeE,comdat
	.globl	_ZN12_GLOBAL__N_141elementwise_kernel_with_index_grid_strideIiZZZN2at6native17linspace_cuda_outERKN3c106ScalarES6_lRNS1_6TensorEENKUlvE_clEvENKUlvE_clEvEUllE_EEvT_T0_PN15function_traitsISD_E11result_typeE ; -- Begin function _ZN12_GLOBAL__N_141elementwise_kernel_with_index_grid_strideIiZZZN2at6native17linspace_cuda_outERKN3c106ScalarES6_lRNS1_6TensorEENKUlvE_clEvENKUlvE_clEvEUllE_EEvT_T0_PN15function_traitsISD_E11result_typeE
	.p2align	8
	.type	_ZN12_GLOBAL__N_141elementwise_kernel_with_index_grid_strideIiZZZN2at6native17linspace_cuda_outERKN3c106ScalarES6_lRNS1_6TensorEENKUlvE_clEvENKUlvE_clEvEUllE_EEvT_T0_PN15function_traitsISD_E11result_typeE,@function
_ZN12_GLOBAL__N_141elementwise_kernel_with_index_grid_strideIiZZZN2at6native17linspace_cuda_outERKN3c106ScalarES6_lRNS1_6TensorEENKUlvE_clEvENKUlvE_clEvEUllE_EEvT_T0_PN15function_traitsISD_E11result_typeE: ; @_ZN12_GLOBAL__N_141elementwise_kernel_with_index_grid_strideIiZZZN2at6native17linspace_cuda_outERKN3c106ScalarES6_lRNS1_6TensorEENKUlvE_clEvENKUlvE_clEvEUllE_EEvT_T0_PN15function_traitsISD_E11result_typeE
; %bb.0:
	s_load_dword s3, s[0:1], 0x3c
	s_load_dword s33, s[0:1], 0x0
	s_add_u32 s4, s0, 48
	s_addc_u32 s5, s1, 0
	s_waitcnt lgkmcnt(0)
	s_and_b32 s3, s3, 0xffff
	s_mul_i32 s6, s2, s3
	v_add_u32_e32 v2, s6, v0
	v_cmp_gt_i32_e32 vcc, s33, v2
	s_and_saveexec_b64 s[6:7], vcc
	s_cbranch_execz .LBB0_12
; %bb.1:
	s_load_dword s7, s[4:5], 0x0
	s_load_dword s13, s[0:1], 0x8
	s_load_dwordx2 s[14:15], s[0:1], 0x10
	s_load_dword s6, s[0:1], 0x18
	s_load_dwordx4 s[8:11], s[0:1], 0x20
	s_waitcnt lgkmcnt(0)
	s_mul_i32 s12, s7, s3
	v_cvt_f32_u32_e32 v1, s12
	s_add_i32 s0, s2, s7
	s_mul_i32 s0, s0, s3
	v_add_u32_e32 v3, s0, v0
	v_rcp_iflag_f32_e32 v1, v1
	v_mov_b32_e32 v5, s0
	v_cmp_gt_i32_e32 vcc, s33, v3
	v_max_i32_e32 v4, s33, v3
	v_mul_f32_e32 v1, 0x4f7ffffe, v1
	v_cvt_u32_f32_e32 v1, v1
	v_addc_co_u32_e64 v0, s[0:1], v0, v5, vcc
	s_sub_i32 s0, 0, s12
	s_nop 0
	v_mul_lo_u32 v3, s0, v1
	v_mul_hi_u32 v3, v1, v3
	v_sub_u32_e32 v0, v4, v0
	v_add_u32_e32 v1, v1, v3
	v_mul_hi_u32 v1, v0, v1
	v_mul_lo_u32 v3, v1, s12
	v_sub_u32_e32 v0, v0, v3
	v_add_u32_e32 v3, 1, v1
	v_cmp_le_u32_e64 s[0:1], s12, v0
	v_cvt_f32_ubyte1_e32 v8, s13
	v_cvt_f32_ubyte0_e32 v10, s13
	v_cndmask_b32_e64 v1, v1, v3, s[0:1]
	v_subrev_u32_e32 v3, s12, v0
	v_cndmask_b32_e64 v0, v0, v3, s[0:1]
	v_add_u32_e32 v3, 1, v1
	v_cmp_le_u32_e64 s[0:1], s12, v0
	s_nop 1
	v_cndmask_b32_e64 v0, v1, v3, s[0:1]
	v_addc_co_u32_e32 v14, vcc, 1, v0, vcc
	v_cmp_lt_u32_e32 vcc, 3, v14
	s_mov_b64 s[0:1], -1
	s_and_saveexec_b64 s[16:17], vcc
	s_cbranch_execz .LBB0_5
; %bb.2:
	v_add_u32_e32 v3, s12, v2
	v_mad_u64_u32 v[0:1], s[0:1], s12, 3, v[2:3]
	v_lshl_add_u32 v4, s12, 1, v2
	v_mov_b32_e32 v5, v0
	v_and_b32_e32 v15, -4, v14
	s_lshl_b32 s13, s12, 2
	v_mov_b64_e32 v[6:7], v[4:5]
	v_mov_b32_e32 v9, v8
	v_mov_b32_e32 v11, v10
	s_mov_b32 s18, s8
	s_mov_b32 s19, s9
	s_mov_b32 s20, s8
	s_mov_b32 s21, s9
	s_mov_b32 s22, s8
	s_mov_b32 s23, s9
	s_mov_b32 s24, s8
	s_mov_b32 s25, s9
	s_mov_b32 s26, s14
	s_mov_b32 s27, s15
	s_mov_b32 s28, s14
	s_mov_b32 s29, s15
	s_mov_b32 s30, s14
	s_mov_b32 s31, s15
	s_mov_b32 s7, s6
	s_mov_b32 s34, s6
	s_mov_b32 s35, s6
	s_mov_b32 s40, s13
	s_mov_b32 s41, s13
	s_mov_b32 s42, s13
	s_mov_b64 s[36:37], 0
	v_mov_b32_e32 v0, v8
	v_mov_b32_e32 v1, v8
	;; [unrolled: 1-line block ×4, first 2 shown]
	s_xor_b32 s39, s6, 0x80000000
	v_mov_b32_e32 v16, v15
	v_mov_b64_e32 v[4:5], v[2:3]
.LBB0_3:                                ; =>This Inner Loop Header: Depth=1
	v_not_b32_e32 v30, v4
	v_not_b32_e32 v32, v5
	;; [unrolled: 1-line block ×4, first 2 shown]
	v_ashrrev_i32_e32 v33, 31, v32
	v_ashrrev_i32_e32 v31, 31, v30
	;; [unrolled: 1-line block ×4, first 2 shown]
	v_lshl_add_u64 v[30:31], s[14:15], 0, v[30:31]
	v_lshl_add_u64 v[32:33], s[26:27], 0, v[32:33]
	;; [unrolled: 1-line block ×4, first 2 shown]
	v_xor_b32_e32 v3, v32, v33
	v_xor_b32_e32 v46, v30, v31
	v_ffbh_i32_e32 v17, v33
	v_ffbh_i32_e32 v47, v31
	v_xor_b32_e32 v48, v28, v29
	v_xor_b32_e32 v50, v26, v27
	v_ashrrev_i32_e32 v3, 31, v3
	v_ashrrev_i32_e32 v46, 31, v46
	v_ffbh_i32_e32 v49, v29
	v_ffbh_i32_e32 v51, v27
	v_add_u32_e32 v17, -1, v17
	v_add_u32_e32 v47, -1, v47
	v_ashrrev_i32_e32 v48, 31, v48
	v_ashrrev_i32_e32 v50, 31, v50
	v_add_u32_e32 v3, 32, v3
	v_add_u32_e32 v46, 32, v46
	v_add_u32_e32 v49, -1, v49
	v_add_u32_e32 v51, -1, v51
	v_add_u32_e32 v48, 32, v48
	v_add_u32_e32 v50, 32, v50
	v_min_u32_e32 v3, v17, v3
	v_min_u32_e32 v17, v47, v46
	;; [unrolled: 1-line block ×4, first 2 shown]
	v_lshlrev_b64 v[32:33], v3, v[32:33]
	v_lshlrev_b64 v[30:31], v17, v[30:31]
	;; [unrolled: 1-line block ×4, first 2 shown]
	v_min_u32_e32 v32, 1, v32
	v_min_u32_e32 v30, 1, v30
	v_min_u32_e32 v28, 1, v28
	v_min_u32_e32 v26, 1, v26
	v_or_b32_e32 v32, v33, v32
	v_or_b32_e32 v30, v31, v30
	;; [unrolled: 1-line block ×4, first 2 shown]
	v_cvt_f32_i32_e32 v27, v32
	v_cvt_f32_i32_e32 v29, v30
	;; [unrolled: 1-line block ×8, first 2 shown]
	v_sub_u32_e32 v3, 32, v3
	v_sub_u32_e32 v17, 32, v17
	v_ashrrev_i32_e32 v19, 31, v4
	v_mov_b32_e32 v18, v4
	v_ashrrev_i32_e32 v21, 31, v5
	v_mov_b32_e32 v20, v5
	;; [unrolled: 2-line block ×3, first 2 shown]
	v_ldexp_f32 v27, v27, v3
	v_ldexp_f32 v26, v29, v17
	v_add_u32_e32 v16, -4, v16
	v_lshl_add_u64 v[42:43], s[10:11], 0, v[22:23]
	v_pk_fma_f32 v[34:35], s[6:7], v[34:35], v[10:11]
	v_sub_u32_e32 v46, 32, v46
	v_sub_u32_e32 v47, 32, v47
	v_cmp_gt_i64_e64 s[0:1], s[22:23], v[22:23]
	v_pk_fma_f32 v[22:23], s[6:7], v[26:27], v[8:9] neg_lo:[1,0,0] neg_hi:[1,0,0]
	v_cmp_gt_i64_e64 s[2:3], s[20:21], v[20:21]
	v_cmp_gt_i64_e64 s[4:5], s[18:19], v[18:19]
	v_ashrrev_i32_e32 v25, 31, v7
	v_mov_b32_e32 v24, v7
	s_xor_b32 s38, s34, 0x80000000
	v_cmp_eq_u32_e32 vcc, 0, v16
	v_ldexp_f32 v29, v28, v46
	v_ldexp_f32 v28, v30, v47
	v_cndmask_b32_e64 v3, v22, v34, s[4:5]
	v_cndmask_b32_e64 v17, v23, v35, s[2:3]
	s_or_b64 s[36:37], vcc, s[36:37]
	v_pk_fma_f32 v[36:37], s[34:35], v[36:37], v[12:13]
	v_pk_fma_f32 v[28:29], s[38:39], v[28:29], v[0:1]
	v_cmp_gt_i64_e32 vcc, s[24:25], v[24:25]
	v_cvt_i32_f32_sdwa v17, v17 dst_sel:BYTE_1 dst_unused:UNUSED_PAD src0_sel:DWORD
	v_cvt_i32_f32_e32 v3, v3
	v_lshl_add_u64 v[38:39], s[10:11], 0, v[18:19]
	v_cndmask_b32_e64 v18, v28, v36, s[0:1]
	v_cndmask_b32_e32 v19, v29, v37, vcc
	v_cvt_i32_f32_sdwa v19, v19 dst_sel:BYTE_1 dst_unused:UNUSED_PAD src0_sel:DWORD
	v_cvt_i32_f32_e32 v18, v18
	v_or_b32_e32 v3, v3, v17
	v_and_b32_e32 v3, 0xffff, v3
	v_add_u32_e32 v7, s42, v7
	v_add_u32_e32 v6, s41, v6
	;; [unrolled: 1-line block ×4, first 2 shown]
	v_lshl_add_u64 v[40:41], s[10:11], 0, v[20:21]
	v_or_b32_e32 v18, v18, v19
	global_store_byte v[38:39], v3, off
	v_lshrrev_b32_e32 v3, 8, v3
	v_lshl_add_u64 v[44:45], s[10:11], 0, v[24:25]
	v_lshrrev_b32_e32 v17, 8, v18
	global_store_byte v[40:41], v3, off
	global_store_byte v[42:43], v18, off
	;; [unrolled: 1-line block ×3, first 2 shown]
	s_andn2_b64 exec, exec, s[36:37]
	s_cbranch_execnz .LBB0_3
; %bb.4:
	s_or_b64 exec, exec, s[36:37]
	v_mad_u64_u32 v[2:3], s[0:1], v15, s12, v[2:3]
	v_cmp_ne_u32_e32 vcc, v14, v15
	s_orn2_b64 s[0:1], vcc, exec
.LBB0_5:
	s_or_b64 exec, exec, s[16:17]
	s_and_b64 exec, exec, s[0:1]
	s_cbranch_execz .LBB0_12
; %bb.6:
	v_ashrrev_i32_e32 v3, 31, v2
	v_not_b32_e32 v1, v3
	v_not_b32_e32 v0, v2
	s_ashr_i32 s13, s12, 31
	v_lshl_add_u64 v[0:1], v[0:1], 0, s[14:15]
	s_mov_b64 s[0:1], 0
	v_mov_b32_e32 v4, s13
	s_branch .LBB0_8
.LBB0_7:                                ;   in Loop: Header=BB0_8 Depth=1
	s_or_b64 exec, exec, s[2:3]
	v_cvt_i32_f32_e32 v5, v5
	v_lshl_add_u64 v[6:7], s[10:11], 0, v[2:3]
	v_lshl_add_u64 v[2:3], v[2:3], 0, s[12:13]
	v_cmp_le_i32_e32 vcc, s33, v2
	s_or_b64 s[0:1], vcc, s[0:1]
	v_subrev_co_u32_e32 v0, vcc, s12, v0
	global_store_byte v[6:7], v5, off
	s_nop 0
	v_subb_co_u32_e32 v1, vcc, v1, v4, vcc
	s_andn2_b64 exec, exec, s[0:1]
	s_cbranch_execz .LBB0_12
.LBB0_8:                                ; =>This Inner Loop Header: Depth=1
	v_cmp_le_i64_e32 vcc, s[8:9], v[2:3]
                                        ; implicit-def: $vgpr5
	s_and_saveexec_b64 s[2:3], vcc
	s_xor_b64 s[2:3], exec, s[2:3]
	s_cbranch_execz .LBB0_10
; %bb.9:                                ;   in Loop: Header=BB0_8 Depth=1
	v_xor_b32_e32 v6, v0, v1
	v_ffbh_i32_e32 v5, v1
	v_ashrrev_i32_e32 v6, 31, v6
	v_add_u32_e32 v5, -1, v5
	v_add_u32_e32 v6, 32, v6
	v_min_u32_e32 v5, v5, v6
	v_lshlrev_b64 v[6:7], v5, v[0:1]
	v_min_u32_e32 v6, 1, v6
	v_or_b32_e32 v6, v7, v6
	v_cvt_f32_i32_e32 v6, v6
	v_sub_u32_e32 v5, 32, v5
	v_ldexp_f32 v5, v6, v5
	v_fma_f32 v5, -s6, v5, v8
.LBB0_10:                               ;   in Loop: Header=BB0_8 Depth=1
	s_andn2_saveexec_b64 s[2:3], s[2:3]
	s_cbranch_execz .LBB0_7
; %bb.11:                               ;   in Loop: Header=BB0_8 Depth=1
	v_cvt_f32_i32_e32 v5, v2
	v_fma_f32 v5, s6, v5, v10
	s_branch .LBB0_7
.LBB0_12:
	s_endpgm
	.section	.rodata,"a",@progbits
	.p2align	6, 0x0
	.amdhsa_kernel _ZN12_GLOBAL__N_141elementwise_kernel_with_index_grid_strideIiZZZN2at6native17linspace_cuda_outERKN3c106ScalarES6_lRNS1_6TensorEENKUlvE_clEvENKUlvE_clEvEUllE_EEvT_T0_PN15function_traitsISD_E11result_typeE
		.amdhsa_group_segment_fixed_size 0
		.amdhsa_private_segment_fixed_size 0
		.amdhsa_kernarg_size 304
		.amdhsa_user_sgpr_count 2
		.amdhsa_user_sgpr_dispatch_ptr 0
		.amdhsa_user_sgpr_queue_ptr 0
		.amdhsa_user_sgpr_kernarg_segment_ptr 1
		.amdhsa_user_sgpr_dispatch_id 0
		.amdhsa_user_sgpr_kernarg_preload_length 0
		.amdhsa_user_sgpr_kernarg_preload_offset 0
		.amdhsa_user_sgpr_private_segment_size 0
		.amdhsa_uses_dynamic_stack 0
		.amdhsa_enable_private_segment 0
		.amdhsa_system_sgpr_workgroup_id_x 1
		.amdhsa_system_sgpr_workgroup_id_y 0
		.amdhsa_system_sgpr_workgroup_id_z 0
		.amdhsa_system_sgpr_workgroup_info 0
		.amdhsa_system_vgpr_workitem_id 0
		.amdhsa_next_free_vgpr 52
		.amdhsa_next_free_sgpr 43
		.amdhsa_accum_offset 52
		.amdhsa_reserve_vcc 1
		.amdhsa_float_round_mode_32 0
		.amdhsa_float_round_mode_16_64 0
		.amdhsa_float_denorm_mode_32 3
		.amdhsa_float_denorm_mode_16_64 3
		.amdhsa_dx10_clamp 1
		.amdhsa_ieee_mode 1
		.amdhsa_fp16_overflow 0
		.amdhsa_tg_split 0
		.amdhsa_exception_fp_ieee_invalid_op 0
		.amdhsa_exception_fp_denorm_src 0
		.amdhsa_exception_fp_ieee_div_zero 0
		.amdhsa_exception_fp_ieee_overflow 0
		.amdhsa_exception_fp_ieee_underflow 0
		.amdhsa_exception_fp_ieee_inexact 0
		.amdhsa_exception_int_div_zero 0
	.end_amdhsa_kernel
	.section	.text._ZN12_GLOBAL__N_141elementwise_kernel_with_index_grid_strideIiZZZN2at6native17linspace_cuda_outERKN3c106ScalarES6_lRNS1_6TensorEENKUlvE_clEvENKUlvE_clEvEUllE_EEvT_T0_PN15function_traitsISD_E11result_typeE,"axG",@progbits,_ZN12_GLOBAL__N_141elementwise_kernel_with_index_grid_strideIiZZZN2at6native17linspace_cuda_outERKN3c106ScalarES6_lRNS1_6TensorEENKUlvE_clEvENKUlvE_clEvEUllE_EEvT_T0_PN15function_traitsISD_E11result_typeE,comdat
.Lfunc_end0:
	.size	_ZN12_GLOBAL__N_141elementwise_kernel_with_index_grid_strideIiZZZN2at6native17linspace_cuda_outERKN3c106ScalarES6_lRNS1_6TensorEENKUlvE_clEvENKUlvE_clEvEUllE_EEvT_T0_PN15function_traitsISD_E11result_typeE, .Lfunc_end0-_ZN12_GLOBAL__N_141elementwise_kernel_with_index_grid_strideIiZZZN2at6native17linspace_cuda_outERKN3c106ScalarES6_lRNS1_6TensorEENKUlvE_clEvENKUlvE_clEvEUllE_EEvT_T0_PN15function_traitsISD_E11result_typeE
                                        ; -- End function
	.set _ZN12_GLOBAL__N_141elementwise_kernel_with_index_grid_strideIiZZZN2at6native17linspace_cuda_outERKN3c106ScalarES6_lRNS1_6TensorEENKUlvE_clEvENKUlvE_clEvEUllE_EEvT_T0_PN15function_traitsISD_E11result_typeE.num_vgpr, 52
	.set _ZN12_GLOBAL__N_141elementwise_kernel_with_index_grid_strideIiZZZN2at6native17linspace_cuda_outERKN3c106ScalarES6_lRNS1_6TensorEENKUlvE_clEvENKUlvE_clEvEUllE_EEvT_T0_PN15function_traitsISD_E11result_typeE.num_agpr, 0
	.set _ZN12_GLOBAL__N_141elementwise_kernel_with_index_grid_strideIiZZZN2at6native17linspace_cuda_outERKN3c106ScalarES6_lRNS1_6TensorEENKUlvE_clEvENKUlvE_clEvEUllE_EEvT_T0_PN15function_traitsISD_E11result_typeE.numbered_sgpr, 43
	.set _ZN12_GLOBAL__N_141elementwise_kernel_with_index_grid_strideIiZZZN2at6native17linspace_cuda_outERKN3c106ScalarES6_lRNS1_6TensorEENKUlvE_clEvENKUlvE_clEvEUllE_EEvT_T0_PN15function_traitsISD_E11result_typeE.num_named_barrier, 0
	.set _ZN12_GLOBAL__N_141elementwise_kernel_with_index_grid_strideIiZZZN2at6native17linspace_cuda_outERKN3c106ScalarES6_lRNS1_6TensorEENKUlvE_clEvENKUlvE_clEvEUllE_EEvT_T0_PN15function_traitsISD_E11result_typeE.private_seg_size, 0
	.set _ZN12_GLOBAL__N_141elementwise_kernel_with_index_grid_strideIiZZZN2at6native17linspace_cuda_outERKN3c106ScalarES6_lRNS1_6TensorEENKUlvE_clEvENKUlvE_clEvEUllE_EEvT_T0_PN15function_traitsISD_E11result_typeE.uses_vcc, 1
	.set _ZN12_GLOBAL__N_141elementwise_kernel_with_index_grid_strideIiZZZN2at6native17linspace_cuda_outERKN3c106ScalarES6_lRNS1_6TensorEENKUlvE_clEvENKUlvE_clEvEUllE_EEvT_T0_PN15function_traitsISD_E11result_typeE.uses_flat_scratch, 0
	.set _ZN12_GLOBAL__N_141elementwise_kernel_with_index_grid_strideIiZZZN2at6native17linspace_cuda_outERKN3c106ScalarES6_lRNS1_6TensorEENKUlvE_clEvENKUlvE_clEvEUllE_EEvT_T0_PN15function_traitsISD_E11result_typeE.has_dyn_sized_stack, 0
	.set _ZN12_GLOBAL__N_141elementwise_kernel_with_index_grid_strideIiZZZN2at6native17linspace_cuda_outERKN3c106ScalarES6_lRNS1_6TensorEENKUlvE_clEvENKUlvE_clEvEUllE_EEvT_T0_PN15function_traitsISD_E11result_typeE.has_recursion, 0
	.set _ZN12_GLOBAL__N_141elementwise_kernel_with_index_grid_strideIiZZZN2at6native17linspace_cuda_outERKN3c106ScalarES6_lRNS1_6TensorEENKUlvE_clEvENKUlvE_clEvEUllE_EEvT_T0_PN15function_traitsISD_E11result_typeE.has_indirect_call, 0
	.section	.AMDGPU.csdata,"",@progbits
; Kernel info:
; codeLenInByte = 1268
; TotalNumSgprs: 49
; NumVgprs: 52
; NumAgprs: 0
; TotalNumVgprs: 52
; ScratchSize: 0
; MemoryBound: 0
; FloatMode: 240
; IeeeMode: 1
; LDSByteSize: 0 bytes/workgroup (compile time only)
; SGPRBlocks: 6
; VGPRBlocks: 6
; NumSGPRsForWavesPerEU: 49
; NumVGPRsForWavesPerEU: 52
; AccumOffset: 52
; Occupancy: 8
; WaveLimiterHint : 0
; COMPUTE_PGM_RSRC2:SCRATCH_EN: 0
; COMPUTE_PGM_RSRC2:USER_SGPR: 2
; COMPUTE_PGM_RSRC2:TRAP_HANDLER: 0
; COMPUTE_PGM_RSRC2:TGID_X_EN: 1
; COMPUTE_PGM_RSRC2:TGID_Y_EN: 0
; COMPUTE_PGM_RSRC2:TGID_Z_EN: 0
; COMPUTE_PGM_RSRC2:TIDIG_COMP_CNT: 0
; COMPUTE_PGM_RSRC3_GFX90A:ACCUM_OFFSET: 12
; COMPUTE_PGM_RSRC3_GFX90A:TG_SPLIT: 0
	.section	.text._ZN12_GLOBAL__N_141elementwise_kernel_with_index_grid_strideIlZZZN2at6native17linspace_cuda_outERKN3c106ScalarES6_lRNS1_6TensorEENKUlvE_clEvENKUlvE_clEvEUllE_EEvT_T0_PN15function_traitsISD_E11result_typeE,"axG",@progbits,_ZN12_GLOBAL__N_141elementwise_kernel_with_index_grid_strideIlZZZN2at6native17linspace_cuda_outERKN3c106ScalarES6_lRNS1_6TensorEENKUlvE_clEvENKUlvE_clEvEUllE_EEvT_T0_PN15function_traitsISD_E11result_typeE,comdat
	.globl	_ZN12_GLOBAL__N_141elementwise_kernel_with_index_grid_strideIlZZZN2at6native17linspace_cuda_outERKN3c106ScalarES6_lRNS1_6TensorEENKUlvE_clEvENKUlvE_clEvEUllE_EEvT_T0_PN15function_traitsISD_E11result_typeE ; -- Begin function _ZN12_GLOBAL__N_141elementwise_kernel_with_index_grid_strideIlZZZN2at6native17linspace_cuda_outERKN3c106ScalarES6_lRNS1_6TensorEENKUlvE_clEvENKUlvE_clEvEUllE_EEvT_T0_PN15function_traitsISD_E11result_typeE
	.p2align	8
	.type	_ZN12_GLOBAL__N_141elementwise_kernel_with_index_grid_strideIlZZZN2at6native17linspace_cuda_outERKN3c106ScalarES6_lRNS1_6TensorEENKUlvE_clEvENKUlvE_clEvEUllE_EEvT_T0_PN15function_traitsISD_E11result_typeE,@function
_ZN12_GLOBAL__N_141elementwise_kernel_with_index_grid_strideIlZZZN2at6native17linspace_cuda_outERKN3c106ScalarES6_lRNS1_6TensorEENKUlvE_clEvENKUlvE_clEvEUllE_EEvT_T0_PN15function_traitsISD_E11result_typeE: ; @_ZN12_GLOBAL__N_141elementwise_kernel_with_index_grid_strideIlZZZN2at6native17linspace_cuda_outERKN3c106ScalarES6_lRNS1_6TensorEENKUlvE_clEvENKUlvE_clEvEUllE_EEvT_T0_PN15function_traitsISD_E11result_typeE
; %bb.0:
	s_load_dword s3, s[0:1], 0x3c
	s_load_dwordx2 s[6:7], s[0:1], 0x0
	s_add_u32 s4, s0, 48
	s_addc_u32 s5, s1, 0
	v_mov_b32_e32 v1, 0
	s_waitcnt lgkmcnt(0)
	s_and_b32 s3, s3, 0xffff
	v_mov_b32_e32 v2, s2
	v_mad_u64_u32 v[2:3], s[8:9], s3, v2, v[0:1]
	v_cmp_gt_i64_e32 vcc, s[6:7], v[2:3]
	s_and_saveexec_b64 s[8:9], vcc
	s_cbranch_execz .LBB1_16
; %bb.1:
	s_load_dword s52, s[4:5], 0x0
	v_mov_b32_e32 v4, s3
	s_mov_b32 s53, 0
	v_mov_b32_e32 v5, s53
	s_load_dword s18, s[0:1], 0x8
	s_waitcnt lgkmcnt(0)
	s_add_u32 s15, s2, s52
	s_addc_u32 s22, 0, 0
	s_mul_i32 s22, s22, s3
	v_mad_u64_u32 v[6:7], s[4:5], s15, v4, v[0:1]
	v_add_u32_e32 v7, s22, v7
	v_mov_b32_e32 v4, s7
	v_cmp_gt_i64_e32 vcc, s[6:7], v[6:7]
	s_mul_hi_u32 s13, s3, s52
	s_mul_i32 s12, s3, s52
	v_cndmask_b32_e32 v9, v7, v4, vcc
	v_mov_b32_e32 v4, s6
	v_cndmask_b32_e32 v8, v6, v4, vcc
	v_cndmask_b32_e64 v4, 0, 1, vcc
	v_lshl_add_u64 v[6:7], v[6:7], 0, v[4:5]
	v_sub_co_u32_e32 v8, vcc, v8, v6
	v_mov_b32_e32 v6, v1
	s_nop 0
	v_subb_co_u32_e32 v9, vcc, v9, v7, vcc
	v_or_b32_e32 v7, s13, v9
	v_cmp_ne_u64_e32 vcc, 0, v[6:7]
                                        ; implicit-def: $vgpr6_vgpr7
	s_and_saveexec_b64 s[4:5], vcc
	s_xor_b64 s[8:9], exec, s[4:5]
	s_cbranch_execz .LBB1_3
; %bb.2:
	v_cvt_f32_u32_e32 v6, s12
	v_cvt_f32_u32_e32 v7, s13
	s_sub_u32 s10, 0, s12
	s_subb_u32 s11, 0, s13
	v_mov_b32_e32 v11, 0
	v_fmamk_f32 v6, v7, 0x4f800000, v6
	v_rcp_f32_e32 v6, v6
	s_nop 0
	v_mul_f32_e32 v6, 0x5f7ffffc, v6
	v_mul_f32_e32 v7, 0x2f800000, v6
	v_trunc_f32_e32 v7, v7
	v_fmamk_f32 v6, v7, 0xcf800000, v6
	v_cvt_u32_f32_e32 v7, v7
	v_cvt_u32_f32_e32 v6, v6
	v_readfirstlane_b32 s14, v7
	v_readfirstlane_b32 s4, v6
	s_mul_i32 s5, s10, s14
	s_mul_hi_u32 s17, s10, s4
	s_mul_i32 s16, s11, s4
	s_add_i32 s5, s17, s5
	s_mul_i32 s19, s10, s4
	s_add_i32 s5, s5, s16
	s_mul_i32 s17, s4, s5
	s_mul_hi_u32 s20, s4, s19
	s_mul_hi_u32 s16, s4, s5
	s_add_u32 s17, s20, s17
	s_addc_u32 s16, 0, s16
	s_mul_hi_u32 s21, s14, s19
	s_mul_i32 s19, s14, s19
	s_add_u32 s17, s17, s19
	s_mul_hi_u32 s20, s14, s5
	s_addc_u32 s16, s16, s21
	s_addc_u32 s17, s20, 0
	s_mul_i32 s5, s14, s5
	s_add_u32 s5, s16, s5
	s_addc_u32 s16, 0, s17
	s_add_u32 s17, s4, s5
	s_cselect_b64 s[4:5], -1, 0
	s_cmp_lg_u64 s[4:5], 0
	s_addc_u32 s14, s14, s16
	s_mul_i32 s4, s10, s14
	s_mul_hi_u32 s5, s10, s17
	s_add_i32 s4, s5, s4
	s_mul_i32 s11, s11, s17
	s_add_i32 s4, s4, s11
	s_mul_i32 s10, s10, s17
	s_mul_hi_u32 s11, s14, s10
	s_mul_i32 s16, s14, s10
	s_mul_i32 s20, s17, s4
	s_mul_hi_u32 s10, s17, s10
	s_mul_hi_u32 s19, s17, s4
	s_add_u32 s10, s10, s20
	s_addc_u32 s19, 0, s19
	s_add_u32 s10, s10, s16
	s_mul_hi_u32 s5, s14, s4
	s_addc_u32 s10, s19, s11
	s_addc_u32 s5, s5, 0
	s_mul_i32 s4, s14, s4
	s_add_u32 s4, s10, s4
	s_addc_u32 s10, 0, s5
	s_add_u32 s11, s17, s4
	s_cselect_b64 s[4:5], -1, 0
	s_cmp_lg_u64 s[4:5], 0
	s_addc_u32 s10, s14, s10
	v_mad_u64_u32 v[6:7], s[4:5], v8, s10, 0
	v_mul_hi_u32 v10, v8, s11
	v_lshl_add_u64 v[6:7], v[10:11], 0, v[6:7]
	v_mad_u64_u32 v[14:15], s[4:5], v9, s11, 0
	v_add_co_u32_e32 v6, vcc, v6, v14
	v_mad_u64_u32 v[12:13], s[4:5], v9, s10, 0
	s_nop 0
	v_addc_co_u32_e32 v10, vcc, v7, v15, vcc
	s_nop 1
	v_addc_co_u32_e32 v13, vcc, 0, v13, vcc
	v_lshl_add_u64 v[6:7], v[10:11], 0, v[12:13]
	v_mul_lo_u32 v12, s13, v6
	v_mul_lo_u32 v13, s12, v7
	v_mad_u64_u32 v[10:11], s[4:5], s12, v6, 0
	v_add3_u32 v14, v11, v13, v12
	v_sub_u32_e32 v11, v9, v14
	v_mov_b32_e32 v12, s13
	v_sub_co_u32_e32 v8, vcc, v8, v10
	s_nop 1
	v_subb_co_u32_e64 v10, s[4:5], v11, v12, vcc
	v_subrev_co_u32_e64 v11, s[4:5], s12, v8
	v_subb_co_u32_e32 v9, vcc, v9, v14, vcc
	s_nop 0
	v_subbrev_co_u32_e64 v10, s[4:5], 0, v10, s[4:5]
	v_cmp_le_u32_e64 s[4:5], s13, v10
	v_cmp_le_u32_e32 vcc, s13, v9
	s_nop 0
	v_cndmask_b32_e64 v12, 0, -1, s[4:5]
	v_cmp_le_u32_e64 s[4:5], s12, v11
	s_nop 1
	v_cndmask_b32_e64 v11, 0, -1, s[4:5]
	v_cmp_eq_u32_e64 s[4:5], s13, v10
	s_nop 1
	v_cndmask_b32_e64 v15, v12, v11, s[4:5]
	v_lshl_add_u64 v[10:11], v[6:7], 0, 2
	v_lshl_add_u64 v[12:13], v[6:7], 0, 1
	v_cmp_ne_u32_e64 s[4:5], 0, v15
	s_nop 1
	v_cndmask_b32_e64 v11, v13, v11, s[4:5]
	v_cndmask_b32_e64 v13, 0, -1, vcc
	v_cmp_le_u32_e32 vcc, s12, v8
	s_nop 1
	v_cndmask_b32_e64 v8, 0, -1, vcc
	v_cmp_eq_u32_e32 vcc, s13, v9
	s_nop 1
	v_cndmask_b32_e32 v8, v13, v8, vcc
	v_cmp_ne_u32_e32 vcc, 0, v8
	v_cndmask_b32_e64 v8, v12, v10, s[4:5]
	s_nop 0
	v_cndmask_b32_e32 v7, v7, v11, vcc
	v_cndmask_b32_e32 v6, v6, v8, vcc
                                        ; implicit-def: $vgpr8
.LBB1_3:
	s_or_saveexec_b64 s[4:5], s[8:9]
	s_load_dwordx4 s[8:11], s[0:1], 0x20
	s_bfe_u32 s19, s18, 0x80008
	s_xor_b64 exec, exec, s[4:5]
	s_cbranch_execz .LBB1_5
; %bb.4:
	v_cvt_f32_u32_e32 v6, s12
	s_sub_i32 s14, 0, s12
	v_rcp_iflag_f32_e32 v6, v6
	s_nop 0
	v_mul_f32_e32 v6, 0x4f7ffffe, v6
	v_cvt_u32_f32_e32 v6, v6
	v_mul_lo_u32 v7, s14, v6
	v_mul_hi_u32 v7, v6, v7
	v_add_u32_e32 v6, v6, v7
	v_mul_hi_u32 v6, v8, v6
	v_mul_lo_u32 v7, v6, s12
	v_sub_u32_e32 v7, v8, v7
	v_add_u32_e32 v9, 1, v6
	v_subrev_u32_e32 v8, s12, v7
	v_cmp_le_u32_e32 vcc, s12, v7
	s_nop 1
	v_cndmask_b32_e32 v7, v7, v8, vcc
	v_cndmask_b32_e32 v6, v6, v9, vcc
	v_add_u32_e32 v8, 1, v6
	v_cmp_le_u32_e32 vcc, s12, v7
	v_mov_b32_e32 v7, 0
	s_nop 0
	v_cndmask_b32_e32 v6, v6, v8, vcc
.LBB1_5:
	s_or_b64 exec, exec, s[4:5]
	s_load_dwordx2 s[16:17], s[0:1], 0x10
	s_load_dword s14, s[0:1], 0x18
	v_lshl_add_u64 v[4:5], v[6:7], 0, v[4:5]
	v_lshl_add_u64 v[16:17], v[4:5], 0, 1
	v_cvt_f32_ubyte0_e32 v12, s19
	v_cvt_f32_ubyte0_e32 v14, s18
	v_cmp_lt_u64_e32 vcc, 3, v[16:17]
	s_mov_b64 s[0:1], -1
	s_and_saveexec_b64 s[18:19], vcc
	s_cbranch_execz .LBB1_9
; %bb.6:
	s_mul_hi_u32 s0, s15, s3
	s_add_i32 s23, s0, s22
	v_mad_u64_u32 v[8:9], s[0:1], s12, 3, v[2:3]
	v_mov_b32_e32 v10, v9
	v_mad_u64_u32 v[6:7], s[0:1], s12, 2, v[2:3]
	v_mad_u64_u32 v[4:5], s[0:1], s12, 1, v[2:3]
	;; [unrolled: 1-line block ×3, first 2 shown]
	s_lshl_b64 s[42:43], s[12:13], 2
	s_mul_i32 s1, s52, 3
	s_mul_hi_u32 s0, s52, 3
	s_add_u32 s1, s1, s2
	s_addc_u32 s0, s0, 0
	s_mul_i32 s0, s0, s3
	s_mul_hi_u32 s4, s1, s3
	s_add_i32 s51, s4, s0
	s_mul_i32 s50, s1, s3
	s_lshl_b64 s[0:1], s[52:53], 1
	s_add_u32 s0, s0, s2
	v_lshl_add_u32 v7, s13, 1, v7
	v_add_u32_e32 v5, s13, v5
	v_mov_b32_e32 v9, v10
	s_addc_u32 s1, s1, 0
	s_mul_hi_u32 s21, s3, s2
	s_mul_i32 s20, s3, s2
	v_and_b32_e32 v18, -4, v16
	v_mov_b32_e32 v19, v17
	s_mul_i32 s1, s1, s3
	s_mul_hi_u32 s2, s0, s3
	v_mov_b64_e32 v[10:11], v[8:9]
	s_mul_i32 s22, s15, s3
	v_mov_b32_e32 v13, v12
	v_mov_b32_e32 v15, v14
	s_waitcnt lgkmcnt(0)
	s_mov_b32 s24, s8
	s_mov_b32 s25, s9
	;; [unrolled: 1-line block ×23, first 2 shown]
	v_lshl_add_u64 v[0:1], s[10:11], 0, v[0:1]
	s_add_i32 s53, s2, s1
	s_mul_i32 s52, s0, s3
	s_mov_b64 s[54:55], 0
	v_mov_b32_e32 v20, v12
	v_mov_b32_e32 v21, v12
	;; [unrolled: 1-line block ×4, first 2 shown]
	v_mov_b64_e32 v[24:25], v[18:19]
	v_mov_b64_e32 v[8:9], v[6:7]
	;; [unrolled: 1-line block ×4, first 2 shown]
.LBB1_7:                                ; =>This Inner Loop Header: Depth=1
	v_not_b32_e32 v27, v7
	v_not_b32_e32 v26, v6
	;; [unrolled: 1-line block ×8, first 2 shown]
	v_ffbh_u32_e32 v42, v7
	v_ffbh_u32_e32 v43, v5
	;; [unrolled: 1-line block ×3, first 2 shown]
	v_lshl_add_u64 v[28:29], s[16:17], 0, v[28:29]
	v_lshl_add_u64 v[26:27], s[34:35], 0, v[26:27]
	v_ffbh_u32_e32 v45, v9
	v_lshl_add_u64 v[32:33], s[36:37], 0, v[32:33]
	v_lshl_add_u64 v[30:31], s[38:39], 0, v[30:31]
	v_min_u32_e32 v46, 32, v42
	v_min_u32_e32 v47, 32, v43
	;; [unrolled: 1-line block ×3, first 2 shown]
	v_xor_b32_e32 v51, v26, v27
	v_xor_b32_e32 v53, v28, v29
	v_min_u32_e32 v50, 32, v45
	v_ffbh_i32_e32 v52, v27
	v_ffbh_i32_e32 v54, v29
	v_xor_b32_e32 v55, v30, v31
	v_xor_b32_e32 v57, v32, v33
	v_lshlrev_b64 v[42:43], v46, v[6:7]
	v_sub_u32_e32 v59, 32, v46
	v_lshlrev_b64 v[44:45], v47, v[4:5]
	v_sub_u32_e32 v60, 32, v47
	v_lshlrev_b64 v[46:47], v48, v[10:11]
	v_ashrrev_i32_e32 v51, 31, v51
	v_ashrrev_i32_e32 v53, 31, v53
	v_ffbh_i32_e32 v56, v31
	v_ffbh_i32_e32 v58, v33
	v_sub_u32_e32 v61, 32, v48
	v_lshlrev_b64 v[48:49], v50, v[8:9]
	v_add_u32_e32 v52, -1, v52
	v_add_u32_e32 v54, -1, v54
	v_ashrrev_i32_e32 v55, 31, v55
	v_ashrrev_i32_e32 v57, 31, v57
	v_min_u32_e32 v42, 1, v42
	v_min_u32_e32 v44, 1, v44
	;; [unrolled: 1-line block ×3, first 2 shown]
	v_add_u32_e32 v51, 32, v51
	v_add_u32_e32 v53, 32, v53
	v_add_u32_e32 v56, -1, v56
	v_add_u32_e32 v58, -1, v58
	v_min_u32_e32 v48, 1, v48
	v_add_u32_e32 v55, 32, v55
	v_add_u32_e32 v57, 32, v57
	v_or_b32_e32 v42, v43, v42
	v_or_b32_e32 v43, v45, v44
	;; [unrolled: 1-line block ×3, first 2 shown]
	v_min_u32_e32 v46, v52, v51
	v_min_u32_e32 v47, v54, v53
	v_or_b32_e32 v45, v49, v48
	v_min_u32_e32 v48, v56, v55
	v_min_u32_e32 v49, v58, v57
	v_lshlrev_b64 v[26:27], v46, v[26:27]
	v_lshlrev_b64 v[28:29], v47, v[28:29]
	;; [unrolled: 1-line block ×4, first 2 shown]
	v_min_u32_e32 v26, 1, v26
	v_min_u32_e32 v28, 1, v28
	;; [unrolled: 1-line block ×4, first 2 shown]
	v_or_b32_e32 v26, v27, v26
	v_or_b32_e32 v27, v29, v28
	v_cvt_f32_u32_e32 v42, v42
	v_cvt_f32_u32_e32 v43, v43
	v_or_b32_e32 v28, v31, v30
	v_or_b32_e32 v29, v33, v32
	v_cvt_f32_i32_e32 v30, v26
	v_cvt_f32_i32_e32 v32, v27
	v_cvt_f32_u32_e32 v44, v44
	v_cvt_f32_u32_e32 v45, v45
	v_cvt_f32_i32_e32 v33, v28
	v_cvt_f32_i32_e32 v51, v29
	v_sub_u32_e32 v46, 32, v46
	v_sub_u32_e32 v47, 32, v47
	v_ldexp_f32 v27, v42, v59
	v_ldexp_f32 v26, v43, v60
	;; [unrolled: 1-line block ×4, first 2 shown]
	v_lshl_add_u64 v[24:25], v[24:25], 0, -4
	v_sub_u32_e32 v50, 32, v50
	v_sub_u32_e32 v48, 32, v48
	;; [unrolled: 1-line block ×3, first 2 shown]
	v_pk_fma_f32 v[26:27], s[14:15], v[26:27], v[14:15]
	v_pk_fma_f32 v[30:31], s[14:15], v[30:31], v[12:13] neg_lo:[1,0,0] neg_hi:[1,0,0]
	v_cmp_gt_i64_e64 s[2:3], s[26:27], v[6:7]
	v_cmp_gt_i64_e64 s[4:5], s[24:25], v[4:5]
	s_xor_b32 s1, s41, 0x80000000
	s_xor_b32 s0, s40, 0x80000000
	v_cmp_eq_u64_e32 vcc, 0, v[24:25]
	v_ldexp_f32 v29, v44, v61
	v_ldexp_f32 v28, v45, v50
	v_ldexp_f32 v33, v33, v48
	v_ldexp_f32 v32, v51, v49
	v_cndmask_b32_e64 v26, v30, v26, s[4:5]
	v_cndmask_b32_e64 v27, v31, v27, s[2:3]
	s_or_b64 s[54:55], vcc, s[54:55]
	v_pk_fma_f32 v[28:29], s[40:41], v[28:29], v[22:23]
	v_pk_fma_f32 v[32:33], s[0:1], v[32:33], v[20:21]
	v_cmp_gt_i64_e32 vcc, s[30:31], v[10:11]
	v_cmp_gt_i64_e64 s[0:1], s[28:29], v[8:9]
	v_cvt_i32_f32_sdwa v27, v27 dst_sel:BYTE_1 dst_unused:UNUSED_PAD src0_sel:DWORD
	v_cvt_i32_f32_e32 v26, v26
	v_cndmask_b32_e64 v28, v32, v28, s[0:1]
	v_cndmask_b32_e32 v29, v33, v29, vcc
	v_cvt_i32_f32_sdwa v29, v29 dst_sel:BYTE_1 dst_unused:UNUSED_PAD src0_sel:DWORD
	v_cvt_i32_f32_e32 v28, v28
	v_or_b32_e32 v26, v26, v27
	v_lshl_add_u64 v[34:35], v[0:1], 0, s[20:21]
	v_and_b32_e32 v26, 0xffff, v26
	v_lshl_add_u64 v[36:37], v[0:1], 0, s[22:23]
	v_lshl_add_u64 v[38:39], v[0:1], 0, s[52:53]
	;; [unrolled: 1-line block ×8, first 2 shown]
	v_or_b32_e32 v28, v28, v29
	global_store_byte v[34:35], v26, off
	v_lshrrev_b32_e32 v26, 8, v26
	v_lshrrev_b32_e32 v27, 8, v28
	global_store_byte v[36:37], v26, off
	global_store_byte v[38:39], v28, off
	;; [unrolled: 1-line block ×3, first 2 shown]
	s_andn2_b64 exec, exec, s[54:55]
	s_cbranch_execnz .LBB1_7
; %bb.8:
	s_or_b64 exec, exec, s[54:55]
	v_mad_u64_u32 v[2:3], s[0:1], v18, s12, v[2:3]
	v_mul_lo_u32 v0, v18, s13
	v_mul_lo_u32 v1, v19, s12
	v_cmp_ne_u64_e32 vcc, v[16:17], v[18:19]
	v_add3_u32 v3, v1, v3, v0
	s_orn2_b64 s[0:1], vcc, exec
.LBB1_9:
	s_or_b64 exec, exec, s[18:19]
	s_and_b64 exec, exec, s[0:1]
	s_cbranch_execz .LBB1_16
; %bb.10:
	v_not_b32_e32 v1, v3
	v_not_b32_e32 v0, v2
	s_waitcnt lgkmcnt(0)
	v_lshl_add_u64 v[0:1], v[0:1], 0, s[16:17]
	s_mov_b64 s[0:1], 0
	v_mov_b32_e32 v4, s13
	s_branch .LBB1_12
.LBB1_11:                               ;   in Loop: Header=BB1_12 Depth=1
	s_or_b64 exec, exec, s[2:3]
	v_cvt_i32_f32_e32 v5, v5
	v_lshl_add_u64 v[6:7], s[10:11], 0, v[2:3]
	v_lshl_add_u64 v[2:3], v[2:3], 0, s[12:13]
	v_cmp_le_i64_e32 vcc, s[6:7], v[2:3]
	s_or_b64 s[0:1], vcc, s[0:1]
	v_subrev_co_u32_e32 v0, vcc, s12, v0
	global_store_byte v[6:7], v5, off
	s_nop 0
	v_subb_co_u32_e32 v1, vcc, v1, v4, vcc
	s_andn2_b64 exec, exec, s[0:1]
	s_cbranch_execz .LBB1_16
.LBB1_12:                               ; =>This Inner Loop Header: Depth=1
	v_cmp_le_i64_e32 vcc, s[8:9], v[2:3]
                                        ; implicit-def: $vgpr5
	s_and_saveexec_b64 s[2:3], vcc
	s_xor_b64 s[2:3], exec, s[2:3]
	s_cbranch_execz .LBB1_14
; %bb.13:                               ;   in Loop: Header=BB1_12 Depth=1
	v_xor_b32_e32 v6, v0, v1
	v_ffbh_i32_e32 v5, v1
	v_ashrrev_i32_e32 v6, 31, v6
	v_add_u32_e32 v5, -1, v5
	v_add_u32_e32 v6, 32, v6
	v_min_u32_e32 v5, v5, v6
	v_lshlrev_b64 v[6:7], v5, v[0:1]
	v_min_u32_e32 v6, 1, v6
	v_or_b32_e32 v6, v7, v6
	v_cvt_f32_i32_e32 v6, v6
	v_sub_u32_e32 v5, 32, v5
	v_ldexp_f32 v5, v6, v5
	v_fma_f32 v5, -s14, v5, v12
.LBB1_14:                               ;   in Loop: Header=BB1_12 Depth=1
	s_andn2_saveexec_b64 s[2:3], s[2:3]
	s_cbranch_execz .LBB1_11
; %bb.15:                               ;   in Loop: Header=BB1_12 Depth=1
	v_ffbh_u32_e32 v5, v3
	v_min_u32_e32 v5, 32, v5
	v_lshlrev_b64 v[6:7], v5, v[2:3]
	v_min_u32_e32 v6, 1, v6
	v_or_b32_e32 v6, v7, v6
	v_cvt_f32_u32_e32 v6, v6
	v_sub_u32_e32 v5, 32, v5
	v_ldexp_f32 v5, v6, v5
	v_fma_f32 v5, s14, v5, v14
	s_branch .LBB1_11
.LBB1_16:
	s_endpgm
	.section	.rodata,"a",@progbits
	.p2align	6, 0x0
	.amdhsa_kernel _ZN12_GLOBAL__N_141elementwise_kernel_with_index_grid_strideIlZZZN2at6native17linspace_cuda_outERKN3c106ScalarES6_lRNS1_6TensorEENKUlvE_clEvENKUlvE_clEvEUllE_EEvT_T0_PN15function_traitsISD_E11result_typeE
		.amdhsa_group_segment_fixed_size 0
		.amdhsa_private_segment_fixed_size 0
		.amdhsa_kernarg_size 304
		.amdhsa_user_sgpr_count 2
		.amdhsa_user_sgpr_dispatch_ptr 0
		.amdhsa_user_sgpr_queue_ptr 0
		.amdhsa_user_sgpr_kernarg_segment_ptr 1
		.amdhsa_user_sgpr_dispatch_id 0
		.amdhsa_user_sgpr_kernarg_preload_length 0
		.amdhsa_user_sgpr_kernarg_preload_offset 0
		.amdhsa_user_sgpr_private_segment_size 0
		.amdhsa_uses_dynamic_stack 0
		.amdhsa_enable_private_segment 0
		.amdhsa_system_sgpr_workgroup_id_x 1
		.amdhsa_system_sgpr_workgroup_id_y 0
		.amdhsa_system_sgpr_workgroup_id_z 0
		.amdhsa_system_sgpr_workgroup_info 0
		.amdhsa_system_vgpr_workitem_id 0
		.amdhsa_next_free_vgpr 62
		.amdhsa_next_free_sgpr 56
		.amdhsa_accum_offset 64
		.amdhsa_reserve_vcc 1
		.amdhsa_float_round_mode_32 0
		.amdhsa_float_round_mode_16_64 0
		.amdhsa_float_denorm_mode_32 3
		.amdhsa_float_denorm_mode_16_64 3
		.amdhsa_dx10_clamp 1
		.amdhsa_ieee_mode 1
		.amdhsa_fp16_overflow 0
		.amdhsa_tg_split 0
		.amdhsa_exception_fp_ieee_invalid_op 0
		.amdhsa_exception_fp_denorm_src 0
		.amdhsa_exception_fp_ieee_div_zero 0
		.amdhsa_exception_fp_ieee_overflow 0
		.amdhsa_exception_fp_ieee_underflow 0
		.amdhsa_exception_fp_ieee_inexact 0
		.amdhsa_exception_int_div_zero 0
	.end_amdhsa_kernel
	.section	.text._ZN12_GLOBAL__N_141elementwise_kernel_with_index_grid_strideIlZZZN2at6native17linspace_cuda_outERKN3c106ScalarES6_lRNS1_6TensorEENKUlvE_clEvENKUlvE_clEvEUllE_EEvT_T0_PN15function_traitsISD_E11result_typeE,"axG",@progbits,_ZN12_GLOBAL__N_141elementwise_kernel_with_index_grid_strideIlZZZN2at6native17linspace_cuda_outERKN3c106ScalarES6_lRNS1_6TensorEENKUlvE_clEvENKUlvE_clEvEUllE_EEvT_T0_PN15function_traitsISD_E11result_typeE,comdat
.Lfunc_end1:
	.size	_ZN12_GLOBAL__N_141elementwise_kernel_with_index_grid_strideIlZZZN2at6native17linspace_cuda_outERKN3c106ScalarES6_lRNS1_6TensorEENKUlvE_clEvENKUlvE_clEvEUllE_EEvT_T0_PN15function_traitsISD_E11result_typeE, .Lfunc_end1-_ZN12_GLOBAL__N_141elementwise_kernel_with_index_grid_strideIlZZZN2at6native17linspace_cuda_outERKN3c106ScalarES6_lRNS1_6TensorEENKUlvE_clEvENKUlvE_clEvEUllE_EEvT_T0_PN15function_traitsISD_E11result_typeE
                                        ; -- End function
	.set _ZN12_GLOBAL__N_141elementwise_kernel_with_index_grid_strideIlZZZN2at6native17linspace_cuda_outERKN3c106ScalarES6_lRNS1_6TensorEENKUlvE_clEvENKUlvE_clEvEUllE_EEvT_T0_PN15function_traitsISD_E11result_typeE.num_vgpr, 62
	.set _ZN12_GLOBAL__N_141elementwise_kernel_with_index_grid_strideIlZZZN2at6native17linspace_cuda_outERKN3c106ScalarES6_lRNS1_6TensorEENKUlvE_clEvENKUlvE_clEvEUllE_EEvT_T0_PN15function_traitsISD_E11result_typeE.num_agpr, 0
	.set _ZN12_GLOBAL__N_141elementwise_kernel_with_index_grid_strideIlZZZN2at6native17linspace_cuda_outERKN3c106ScalarES6_lRNS1_6TensorEENKUlvE_clEvENKUlvE_clEvEUllE_EEvT_T0_PN15function_traitsISD_E11result_typeE.numbered_sgpr, 56
	.set _ZN12_GLOBAL__N_141elementwise_kernel_with_index_grid_strideIlZZZN2at6native17linspace_cuda_outERKN3c106ScalarES6_lRNS1_6TensorEENKUlvE_clEvENKUlvE_clEvEUllE_EEvT_T0_PN15function_traitsISD_E11result_typeE.num_named_barrier, 0
	.set _ZN12_GLOBAL__N_141elementwise_kernel_with_index_grid_strideIlZZZN2at6native17linspace_cuda_outERKN3c106ScalarES6_lRNS1_6TensorEENKUlvE_clEvENKUlvE_clEvEUllE_EEvT_T0_PN15function_traitsISD_E11result_typeE.private_seg_size, 0
	.set _ZN12_GLOBAL__N_141elementwise_kernel_with_index_grid_strideIlZZZN2at6native17linspace_cuda_outERKN3c106ScalarES6_lRNS1_6TensorEENKUlvE_clEvENKUlvE_clEvEUllE_EEvT_T0_PN15function_traitsISD_E11result_typeE.uses_vcc, 1
	.set _ZN12_GLOBAL__N_141elementwise_kernel_with_index_grid_strideIlZZZN2at6native17linspace_cuda_outERKN3c106ScalarES6_lRNS1_6TensorEENKUlvE_clEvENKUlvE_clEvEUllE_EEvT_T0_PN15function_traitsISD_E11result_typeE.uses_flat_scratch, 0
	.set _ZN12_GLOBAL__N_141elementwise_kernel_with_index_grid_strideIlZZZN2at6native17linspace_cuda_outERKN3c106ScalarES6_lRNS1_6TensorEENKUlvE_clEvENKUlvE_clEvEUllE_EEvT_T0_PN15function_traitsISD_E11result_typeE.has_dyn_sized_stack, 0
	.set _ZN12_GLOBAL__N_141elementwise_kernel_with_index_grid_strideIlZZZN2at6native17linspace_cuda_outERKN3c106ScalarES6_lRNS1_6TensorEENKUlvE_clEvENKUlvE_clEvEUllE_EEvT_T0_PN15function_traitsISD_E11result_typeE.has_recursion, 0
	.set _ZN12_GLOBAL__N_141elementwise_kernel_with_index_grid_strideIlZZZN2at6native17linspace_cuda_outERKN3c106ScalarES6_lRNS1_6TensorEENKUlvE_clEvENKUlvE_clEvEUllE_EEvT_T0_PN15function_traitsISD_E11result_typeE.has_indirect_call, 0
	.section	.AMDGPU.csdata,"",@progbits
; Kernel info:
; codeLenInByte = 2296
; TotalNumSgprs: 62
; NumVgprs: 62
; NumAgprs: 0
; TotalNumVgprs: 62
; ScratchSize: 0
; MemoryBound: 0
; FloatMode: 240
; IeeeMode: 1
; LDSByteSize: 0 bytes/workgroup (compile time only)
; SGPRBlocks: 7
; VGPRBlocks: 7
; NumSGPRsForWavesPerEU: 62
; NumVGPRsForWavesPerEU: 62
; AccumOffset: 64
; Occupancy: 8
; WaveLimiterHint : 0
; COMPUTE_PGM_RSRC2:SCRATCH_EN: 0
; COMPUTE_PGM_RSRC2:USER_SGPR: 2
; COMPUTE_PGM_RSRC2:TRAP_HANDLER: 0
; COMPUTE_PGM_RSRC2:TGID_X_EN: 1
; COMPUTE_PGM_RSRC2:TGID_Y_EN: 0
; COMPUTE_PGM_RSRC2:TGID_Z_EN: 0
; COMPUTE_PGM_RSRC2:TIDIG_COMP_CNT: 0
; COMPUTE_PGM_RSRC3_GFX90A:ACCUM_OFFSET: 15
; COMPUTE_PGM_RSRC3_GFX90A:TG_SPLIT: 0
	.section	.text._ZN12_GLOBAL__N_141elementwise_kernel_with_index_grid_strideIiZZZN2at6native17linspace_cuda_outERKN3c106ScalarES6_lRNS1_6TensorEENKUlvE_clEvENKUlvE0_clEvEUllE_EEvT_T0_PN15function_traitsISD_E11result_typeE,"axG",@progbits,_ZN12_GLOBAL__N_141elementwise_kernel_with_index_grid_strideIiZZZN2at6native17linspace_cuda_outERKN3c106ScalarES6_lRNS1_6TensorEENKUlvE_clEvENKUlvE0_clEvEUllE_EEvT_T0_PN15function_traitsISD_E11result_typeE,comdat
	.globl	_ZN12_GLOBAL__N_141elementwise_kernel_with_index_grid_strideIiZZZN2at6native17linspace_cuda_outERKN3c106ScalarES6_lRNS1_6TensorEENKUlvE_clEvENKUlvE0_clEvEUllE_EEvT_T0_PN15function_traitsISD_E11result_typeE ; -- Begin function _ZN12_GLOBAL__N_141elementwise_kernel_with_index_grid_strideIiZZZN2at6native17linspace_cuda_outERKN3c106ScalarES6_lRNS1_6TensorEENKUlvE_clEvENKUlvE0_clEvEUllE_EEvT_T0_PN15function_traitsISD_E11result_typeE
	.p2align	8
	.type	_ZN12_GLOBAL__N_141elementwise_kernel_with_index_grid_strideIiZZZN2at6native17linspace_cuda_outERKN3c106ScalarES6_lRNS1_6TensorEENKUlvE_clEvENKUlvE0_clEvEUllE_EEvT_T0_PN15function_traitsISD_E11result_typeE,@function
_ZN12_GLOBAL__N_141elementwise_kernel_with_index_grid_strideIiZZZN2at6native17linspace_cuda_outERKN3c106ScalarES6_lRNS1_6TensorEENKUlvE_clEvENKUlvE0_clEvEUllE_EEvT_T0_PN15function_traitsISD_E11result_typeE: ; @_ZN12_GLOBAL__N_141elementwise_kernel_with_index_grid_strideIiZZZN2at6native17linspace_cuda_outERKN3c106ScalarES6_lRNS1_6TensorEENKUlvE_clEvENKUlvE0_clEvEUllE_EEvT_T0_PN15function_traitsISD_E11result_typeE
; %bb.0:
	s_load_dword s3, s[0:1], 0x3c
	s_load_dword s33, s[0:1], 0x0
	s_add_u32 s4, s0, 48
	s_addc_u32 s5, s1, 0
	s_waitcnt lgkmcnt(0)
	s_and_b32 s3, s3, 0xffff
	s_mul_i32 s6, s2, s3
	v_add_u32_e32 v2, s6, v0
	v_cmp_gt_i32_e32 vcc, s33, v2
	s_and_saveexec_b64 s[6:7], vcc
	s_cbranch_execz .LBB2_12
; %bb.1:
	s_load_dword s7, s[4:5], 0x0
	s_load_dword s13, s[0:1], 0x8
	s_load_dwordx2 s[14:15], s[0:1], 0x10
	s_load_dword s6, s[0:1], 0x18
	s_load_dwordx4 s[8:11], s[0:1], 0x20
	s_waitcnt lgkmcnt(0)
	s_mul_i32 s12, s7, s3
	v_cvt_f32_u32_e32 v1, s12
	s_and_b32 s0, s13, 0xffff
	s_sext_i32_i16 s0, s0
	s_bfe_i32 s1, s13, 0x80000
	v_rcp_iflag_f32_e32 v1, v1
	s_ashr_i32 s0, s0, 8
	v_cvt_f32_i32_e32 v8, s0
	s_sext_i32_i16 s0, s1
	v_cvt_f32_i32_e32 v10, s0
	s_add_i32 s0, s2, s7
	s_mul_i32 s0, s0, s3
	v_mul_f32_e32 v1, 0x4f7ffffe, v1
	v_add_u32_e32 v3, s0, v0
	v_cvt_u32_f32_e32 v1, v1
	v_mov_b32_e32 v5, s0
	v_cmp_gt_i32_e32 vcc, s33, v3
	v_max_i32_e32 v4, s33, v3
	s_nop 0
	v_addc_co_u32_e64 v0, s[0:1], v0, v5, vcc
	s_sub_i32 s0, 0, s12
	s_nop 0
	v_mul_lo_u32 v3, s0, v1
	v_mul_hi_u32 v3, v1, v3
	v_sub_u32_e32 v0, v4, v0
	v_add_u32_e32 v1, v1, v3
	v_mul_hi_u32 v1, v0, v1
	v_mul_lo_u32 v3, v1, s12
	v_sub_u32_e32 v0, v0, v3
	v_add_u32_e32 v3, 1, v1
	v_cmp_le_u32_e64 s[0:1], s12, v0
	s_nop 1
	v_cndmask_b32_e64 v1, v1, v3, s[0:1]
	v_subrev_u32_e32 v3, s12, v0
	v_cndmask_b32_e64 v0, v0, v3, s[0:1]
	v_add_u32_e32 v3, 1, v1
	v_cmp_le_u32_e64 s[0:1], s12, v0
	s_nop 1
	v_cndmask_b32_e64 v0, v1, v3, s[0:1]
	v_addc_co_u32_e32 v14, vcc, 1, v0, vcc
	v_cmp_lt_u32_e32 vcc, 3, v14
	s_mov_b64 s[0:1], -1
	s_and_saveexec_b64 s[16:17], vcc
	s_cbranch_execz .LBB2_5
; %bb.2:
	v_add_u32_e32 v3, s12, v2
	v_mad_u64_u32 v[0:1], s[0:1], s12, 3, v[2:3]
	v_lshl_add_u32 v4, s12, 1, v2
	v_mov_b32_e32 v5, v0
	v_and_b32_e32 v15, -4, v14
	s_lshl_b32 s13, s12, 2
	v_mov_b64_e32 v[6:7], v[4:5]
	v_mov_b32_e32 v9, v8
	v_mov_b32_e32 v11, v10
	s_mov_b32 s18, s8
	s_mov_b32 s19, s9
	s_mov_b32 s20, s8
	s_mov_b32 s21, s9
	s_mov_b32 s22, s8
	s_mov_b32 s23, s9
	s_mov_b32 s24, s8
	s_mov_b32 s25, s9
	s_mov_b32 s26, s14
	s_mov_b32 s27, s15
	s_mov_b32 s28, s14
	s_mov_b32 s29, s15
	s_mov_b32 s30, s14
	s_mov_b32 s31, s15
	s_mov_b32 s7, s6
	s_mov_b32 s34, s6
	s_mov_b32 s35, s6
	s_mov_b32 s38, s13
	s_mov_b32 s39, s13
	s_mov_b32 s40, s13
	s_mov_b64 s[36:37], 0
	v_mov_b32_e32 v0, v8
	v_mov_b32_e32 v1, v8
	;; [unrolled: 1-line block ×4, first 2 shown]
	s_movk_i32 s41, 0xff
	v_mov_b32_e32 v16, v15
	v_mov_b64_e32 v[4:5], v[2:3]
.LBB2_3:                                ; =>This Inner Loop Header: Depth=1
	v_not_b32_e32 v26, v6
	v_not_b32_e32 v28, v7
	;; [unrolled: 1-line block ×4, first 2 shown]
	v_ashrrev_i32_e32 v33, 31, v32
	v_ashrrev_i32_e32 v31, 31, v30
	v_ashrrev_i32_e32 v29, 31, v28
	v_ashrrev_i32_e32 v27, 31, v26
	v_lshl_add_u64 v[26:27], s[28:29], 0, v[26:27]
	v_lshl_add_u64 v[28:29], s[30:31], 0, v[28:29]
	;; [unrolled: 1-line block ×4, first 2 shown]
	v_xor_b32_e32 v3, v32, v33
	v_xor_b32_e32 v46, v30, v31
	;; [unrolled: 1-line block ×4, first 2 shown]
	v_ffbh_i32_e32 v17, v33
	v_ffbh_i32_e32 v47, v31
	;; [unrolled: 1-line block ×4, first 2 shown]
	v_ashrrev_i32_e32 v3, 31, v3
	v_ashrrev_i32_e32 v46, 31, v46
	;; [unrolled: 1-line block ×4, first 2 shown]
	v_add_u32_e32 v17, -1, v17
	v_add_u32_e32 v47, -1, v47
	v_add_u32_e32 v49, -1, v49
	v_add_u32_e32 v51, -1, v51
	v_add_u32_e32 v3, 32, v3
	v_add_u32_e32 v46, 32, v46
	;; [unrolled: 1-line block ×4, first 2 shown]
	v_min_u32_e32 v3, v17, v3
	v_min_u32_e32 v17, v47, v46
	;; [unrolled: 1-line block ×4, first 2 shown]
	v_lshlrev_b64 v[32:33], v3, v[32:33]
	v_lshlrev_b64 v[30:31], v17, v[30:31]
	;; [unrolled: 1-line block ×4, first 2 shown]
	v_min_u32_e32 v32, 1, v32
	v_min_u32_e32 v30, 1, v30
	;; [unrolled: 1-line block ×4, first 2 shown]
	v_or_b32_e32 v32, v33, v32
	v_or_b32_e32 v30, v31, v30
	v_or_b32_e32 v28, v29, v28
	v_or_b32_e32 v26, v27, v26
	v_cvt_f32_i32_e32 v27, v32
	v_cvt_f32_i32_e32 v29, v30
	;; [unrolled: 1-line block ×8, first 2 shown]
	v_sub_u32_e32 v3, 32, v3
	v_sub_u32_e32 v17, 32, v17
	;; [unrolled: 1-line block ×4, first 2 shown]
	v_ashrrev_i32_e32 v19, 31, v4
	v_mov_b32_e32 v18, v4
	v_ashrrev_i32_e32 v21, 31, v5
	v_mov_b32_e32 v20, v5
	v_ashrrev_i32_e32 v23, 31, v6
	v_mov_b32_e32 v22, v6
	s_xor_b32 s1, s35, 0x80000000
	s_xor_b32 s0, s34, 0x80000000
	v_ldexp_f32 v27, v27, v3
	v_ldexp_f32 v26, v29, v17
	;; [unrolled: 1-line block ×4, first 2 shown]
	v_add_u32_e32 v16, -4, v16
	v_lshl_add_u64 v[42:43], s[10:11], 0, v[22:23]
	v_pk_fma_f32 v[34:35], s[6:7], v[34:35], v[10:11]
	v_pk_fma_f32 v[28:29], s[0:1], v[28:29], v[0:1]
	v_cmp_gt_i64_e64 s[0:1], s[22:23], v[22:23]
	v_pk_fma_f32 v[22:23], s[6:7], v[26:27], v[8:9] neg_lo:[1,0,0] neg_hi:[1,0,0]
	v_cmp_gt_i64_e64 s[2:3], s[20:21], v[20:21]
	v_cmp_gt_i64_e64 s[4:5], s[18:19], v[18:19]
	v_ashrrev_i32_e32 v25, 31, v7
	v_mov_b32_e32 v24, v7
	v_cmp_eq_u32_e32 vcc, 0, v16
	v_cndmask_b32_e64 v3, v22, v34, s[4:5]
	v_cndmask_b32_e64 v17, v23, v35, s[2:3]
	s_or_b64 s[36:37], vcc, s[36:37]
	v_pk_fma_f32 v[36:37], s[34:35], v[36:37], v[12:13]
	v_cmp_gt_i64_e32 vcc, s[24:25], v[24:25]
	v_cvt_i32_f32_sdwa v17, v17 dst_sel:BYTE_1 dst_unused:UNUSED_PAD src0_sel:DWORD
	v_cvt_i32_f32_e32 v3, v3
	v_lshl_add_u64 v[38:39], s[10:11], 0, v[18:19]
	v_cndmask_b32_e64 v18, v28, v36, s[0:1]
	v_cndmask_b32_e32 v19, v29, v37, vcc
	v_cvt_i32_f32_sdwa v19, v19 dst_sel:BYTE_1 dst_unused:UNUSED_PAD src0_sel:DWORD
	v_cvt_i32_f32_e32 v18, v18
	v_bitop3_b16 v3, v3, v17, s41 bitop3:0xec
	v_and_b32_e32 v3, 0xffff, v3
	v_add_u32_e32 v7, s40, v7
	v_add_u32_e32 v6, s39, v6
	;; [unrolled: 1-line block ×4, first 2 shown]
	v_lshl_add_u64 v[40:41], s[10:11], 0, v[20:21]
	v_bitop3_b16 v18, v18, v19, s41 bitop3:0xec
	global_store_byte v[38:39], v3, off
	v_lshrrev_b32_e32 v3, 8, v3
	v_lshl_add_u64 v[44:45], s[10:11], 0, v[24:25]
	v_lshrrev_b32_e32 v17, 8, v18
	global_store_byte v[40:41], v3, off
	global_store_byte v[42:43], v18, off
	;; [unrolled: 1-line block ×3, first 2 shown]
	s_andn2_b64 exec, exec, s[36:37]
	s_cbranch_execnz .LBB2_3
; %bb.4:
	s_or_b64 exec, exec, s[36:37]
	v_mad_u64_u32 v[2:3], s[0:1], v15, s12, v[2:3]
	v_cmp_ne_u32_e32 vcc, v14, v15
	s_orn2_b64 s[0:1], vcc, exec
.LBB2_5:
	s_or_b64 exec, exec, s[16:17]
	s_and_b64 exec, exec, s[0:1]
	s_cbranch_execz .LBB2_12
; %bb.6:
	v_ashrrev_i32_e32 v3, 31, v2
	v_not_b32_e32 v1, v3
	v_not_b32_e32 v0, v2
	s_ashr_i32 s13, s12, 31
	v_lshl_add_u64 v[0:1], v[0:1], 0, s[14:15]
	s_mov_b64 s[0:1], 0
	v_mov_b32_e32 v4, s13
	s_branch .LBB2_8
.LBB2_7:                                ;   in Loop: Header=BB2_8 Depth=1
	s_or_b64 exec, exec, s[2:3]
	v_cvt_i32_f32_e32 v5, v5
	v_lshl_add_u64 v[6:7], s[10:11], 0, v[2:3]
	v_lshl_add_u64 v[2:3], v[2:3], 0, s[12:13]
	v_cmp_le_i32_e32 vcc, s33, v2
	s_or_b64 s[0:1], vcc, s[0:1]
	v_subrev_co_u32_e32 v0, vcc, s12, v0
	global_store_byte v[6:7], v5, off
	s_nop 0
	v_subb_co_u32_e32 v1, vcc, v1, v4, vcc
	s_andn2_b64 exec, exec, s[0:1]
	s_cbranch_execz .LBB2_12
.LBB2_8:                                ; =>This Inner Loop Header: Depth=1
	v_cmp_le_i64_e32 vcc, s[8:9], v[2:3]
                                        ; implicit-def: $vgpr5
	s_and_saveexec_b64 s[2:3], vcc
	s_xor_b64 s[2:3], exec, s[2:3]
	s_cbranch_execz .LBB2_10
; %bb.9:                                ;   in Loop: Header=BB2_8 Depth=1
	v_xor_b32_e32 v6, v0, v1
	v_ffbh_i32_e32 v5, v1
	v_ashrrev_i32_e32 v6, 31, v6
	v_add_u32_e32 v5, -1, v5
	v_add_u32_e32 v6, 32, v6
	v_min_u32_e32 v5, v5, v6
	v_lshlrev_b64 v[6:7], v5, v[0:1]
	v_min_u32_e32 v6, 1, v6
	v_or_b32_e32 v6, v7, v6
	v_cvt_f32_i32_e32 v6, v6
	v_sub_u32_e32 v5, 32, v5
	v_ldexp_f32 v5, v6, v5
	v_fma_f32 v5, -s6, v5, v8
.LBB2_10:                               ;   in Loop: Header=BB2_8 Depth=1
	s_andn2_saveexec_b64 s[2:3], s[2:3]
	s_cbranch_execz .LBB2_7
; %bb.11:                               ;   in Loop: Header=BB2_8 Depth=1
	v_cvt_f32_i32_e32 v5, v2
	v_fma_f32 v5, s6, v5, v10
	s_branch .LBB2_7
.LBB2_12:
	s_endpgm
	.section	.rodata,"a",@progbits
	.p2align	6, 0x0
	.amdhsa_kernel _ZN12_GLOBAL__N_141elementwise_kernel_with_index_grid_strideIiZZZN2at6native17linspace_cuda_outERKN3c106ScalarES6_lRNS1_6TensorEENKUlvE_clEvENKUlvE0_clEvEUllE_EEvT_T0_PN15function_traitsISD_E11result_typeE
		.amdhsa_group_segment_fixed_size 0
		.amdhsa_private_segment_fixed_size 0
		.amdhsa_kernarg_size 304
		.amdhsa_user_sgpr_count 2
		.amdhsa_user_sgpr_dispatch_ptr 0
		.amdhsa_user_sgpr_queue_ptr 0
		.amdhsa_user_sgpr_kernarg_segment_ptr 1
		.amdhsa_user_sgpr_dispatch_id 0
		.amdhsa_user_sgpr_kernarg_preload_length 0
		.amdhsa_user_sgpr_kernarg_preload_offset 0
		.amdhsa_user_sgpr_private_segment_size 0
		.amdhsa_uses_dynamic_stack 0
		.amdhsa_enable_private_segment 0
		.amdhsa_system_sgpr_workgroup_id_x 1
		.amdhsa_system_sgpr_workgroup_id_y 0
		.amdhsa_system_sgpr_workgroup_id_z 0
		.amdhsa_system_sgpr_workgroup_info 0
		.amdhsa_system_vgpr_workitem_id 0
		.amdhsa_next_free_vgpr 52
		.amdhsa_next_free_sgpr 42
		.amdhsa_accum_offset 52
		.amdhsa_reserve_vcc 1
		.amdhsa_float_round_mode_32 0
		.amdhsa_float_round_mode_16_64 0
		.amdhsa_float_denorm_mode_32 3
		.amdhsa_float_denorm_mode_16_64 3
		.amdhsa_dx10_clamp 1
		.amdhsa_ieee_mode 1
		.amdhsa_fp16_overflow 0
		.amdhsa_tg_split 0
		.amdhsa_exception_fp_ieee_invalid_op 0
		.amdhsa_exception_fp_denorm_src 0
		.amdhsa_exception_fp_ieee_div_zero 0
		.amdhsa_exception_fp_ieee_overflow 0
		.amdhsa_exception_fp_ieee_underflow 0
		.amdhsa_exception_fp_ieee_inexact 0
		.amdhsa_exception_int_div_zero 0
	.end_amdhsa_kernel
	.section	.text._ZN12_GLOBAL__N_141elementwise_kernel_with_index_grid_strideIiZZZN2at6native17linspace_cuda_outERKN3c106ScalarES6_lRNS1_6TensorEENKUlvE_clEvENKUlvE0_clEvEUllE_EEvT_T0_PN15function_traitsISD_E11result_typeE,"axG",@progbits,_ZN12_GLOBAL__N_141elementwise_kernel_with_index_grid_strideIiZZZN2at6native17linspace_cuda_outERKN3c106ScalarES6_lRNS1_6TensorEENKUlvE_clEvENKUlvE0_clEvEUllE_EEvT_T0_PN15function_traitsISD_E11result_typeE,comdat
.Lfunc_end2:
	.size	_ZN12_GLOBAL__N_141elementwise_kernel_with_index_grid_strideIiZZZN2at6native17linspace_cuda_outERKN3c106ScalarES6_lRNS1_6TensorEENKUlvE_clEvENKUlvE0_clEvEUllE_EEvT_T0_PN15function_traitsISD_E11result_typeE, .Lfunc_end2-_ZN12_GLOBAL__N_141elementwise_kernel_with_index_grid_strideIiZZZN2at6native17linspace_cuda_outERKN3c106ScalarES6_lRNS1_6TensorEENKUlvE_clEvENKUlvE0_clEvEUllE_EEvT_T0_PN15function_traitsISD_E11result_typeE
                                        ; -- End function
	.set _ZN12_GLOBAL__N_141elementwise_kernel_with_index_grid_strideIiZZZN2at6native17linspace_cuda_outERKN3c106ScalarES6_lRNS1_6TensorEENKUlvE_clEvENKUlvE0_clEvEUllE_EEvT_T0_PN15function_traitsISD_E11result_typeE.num_vgpr, 52
	.set _ZN12_GLOBAL__N_141elementwise_kernel_with_index_grid_strideIiZZZN2at6native17linspace_cuda_outERKN3c106ScalarES6_lRNS1_6TensorEENKUlvE_clEvENKUlvE0_clEvEUllE_EEvT_T0_PN15function_traitsISD_E11result_typeE.num_agpr, 0
	.set _ZN12_GLOBAL__N_141elementwise_kernel_with_index_grid_strideIiZZZN2at6native17linspace_cuda_outERKN3c106ScalarES6_lRNS1_6TensorEENKUlvE_clEvENKUlvE0_clEvEUllE_EEvT_T0_PN15function_traitsISD_E11result_typeE.numbered_sgpr, 42
	.set _ZN12_GLOBAL__N_141elementwise_kernel_with_index_grid_strideIiZZZN2at6native17linspace_cuda_outERKN3c106ScalarES6_lRNS1_6TensorEENKUlvE_clEvENKUlvE0_clEvEUllE_EEvT_T0_PN15function_traitsISD_E11result_typeE.num_named_barrier, 0
	.set _ZN12_GLOBAL__N_141elementwise_kernel_with_index_grid_strideIiZZZN2at6native17linspace_cuda_outERKN3c106ScalarES6_lRNS1_6TensorEENKUlvE_clEvENKUlvE0_clEvEUllE_EEvT_T0_PN15function_traitsISD_E11result_typeE.private_seg_size, 0
	.set _ZN12_GLOBAL__N_141elementwise_kernel_with_index_grid_strideIiZZZN2at6native17linspace_cuda_outERKN3c106ScalarES6_lRNS1_6TensorEENKUlvE_clEvENKUlvE0_clEvEUllE_EEvT_T0_PN15function_traitsISD_E11result_typeE.uses_vcc, 1
	.set _ZN12_GLOBAL__N_141elementwise_kernel_with_index_grid_strideIiZZZN2at6native17linspace_cuda_outERKN3c106ScalarES6_lRNS1_6TensorEENKUlvE_clEvENKUlvE0_clEvEUllE_EEvT_T0_PN15function_traitsISD_E11result_typeE.uses_flat_scratch, 0
	.set _ZN12_GLOBAL__N_141elementwise_kernel_with_index_grid_strideIiZZZN2at6native17linspace_cuda_outERKN3c106ScalarES6_lRNS1_6TensorEENKUlvE_clEvENKUlvE0_clEvEUllE_EEvT_T0_PN15function_traitsISD_E11result_typeE.has_dyn_sized_stack, 0
	.set _ZN12_GLOBAL__N_141elementwise_kernel_with_index_grid_strideIiZZZN2at6native17linspace_cuda_outERKN3c106ScalarES6_lRNS1_6TensorEENKUlvE_clEvENKUlvE0_clEvEUllE_EEvT_T0_PN15function_traitsISD_E11result_typeE.has_recursion, 0
	.set _ZN12_GLOBAL__N_141elementwise_kernel_with_index_grid_strideIiZZZN2at6native17linspace_cuda_outERKN3c106ScalarES6_lRNS1_6TensorEENKUlvE_clEvENKUlvE0_clEvEUllE_EEvT_T0_PN15function_traitsISD_E11result_typeE.has_indirect_call, 0
	.section	.AMDGPU.csdata,"",@progbits
; Kernel info:
; codeLenInByte = 1316
; TotalNumSgprs: 48
; NumVgprs: 52
; NumAgprs: 0
; TotalNumVgprs: 52
; ScratchSize: 0
; MemoryBound: 0
; FloatMode: 240
; IeeeMode: 1
; LDSByteSize: 0 bytes/workgroup (compile time only)
; SGPRBlocks: 5
; VGPRBlocks: 6
; NumSGPRsForWavesPerEU: 48
; NumVGPRsForWavesPerEU: 52
; AccumOffset: 52
; Occupancy: 8
; WaveLimiterHint : 0
; COMPUTE_PGM_RSRC2:SCRATCH_EN: 0
; COMPUTE_PGM_RSRC2:USER_SGPR: 2
; COMPUTE_PGM_RSRC2:TRAP_HANDLER: 0
; COMPUTE_PGM_RSRC2:TGID_X_EN: 1
; COMPUTE_PGM_RSRC2:TGID_Y_EN: 0
; COMPUTE_PGM_RSRC2:TGID_Z_EN: 0
; COMPUTE_PGM_RSRC2:TIDIG_COMP_CNT: 0
; COMPUTE_PGM_RSRC3_GFX90A:ACCUM_OFFSET: 12
; COMPUTE_PGM_RSRC3_GFX90A:TG_SPLIT: 0
	.section	.text._ZN12_GLOBAL__N_141elementwise_kernel_with_index_grid_strideIlZZZN2at6native17linspace_cuda_outERKN3c106ScalarES6_lRNS1_6TensorEENKUlvE_clEvENKUlvE0_clEvEUllE_EEvT_T0_PN15function_traitsISD_E11result_typeE,"axG",@progbits,_ZN12_GLOBAL__N_141elementwise_kernel_with_index_grid_strideIlZZZN2at6native17linspace_cuda_outERKN3c106ScalarES6_lRNS1_6TensorEENKUlvE_clEvENKUlvE0_clEvEUllE_EEvT_T0_PN15function_traitsISD_E11result_typeE,comdat
	.globl	_ZN12_GLOBAL__N_141elementwise_kernel_with_index_grid_strideIlZZZN2at6native17linspace_cuda_outERKN3c106ScalarES6_lRNS1_6TensorEENKUlvE_clEvENKUlvE0_clEvEUllE_EEvT_T0_PN15function_traitsISD_E11result_typeE ; -- Begin function _ZN12_GLOBAL__N_141elementwise_kernel_with_index_grid_strideIlZZZN2at6native17linspace_cuda_outERKN3c106ScalarES6_lRNS1_6TensorEENKUlvE_clEvENKUlvE0_clEvEUllE_EEvT_T0_PN15function_traitsISD_E11result_typeE
	.p2align	8
	.type	_ZN12_GLOBAL__N_141elementwise_kernel_with_index_grid_strideIlZZZN2at6native17linspace_cuda_outERKN3c106ScalarES6_lRNS1_6TensorEENKUlvE_clEvENKUlvE0_clEvEUllE_EEvT_T0_PN15function_traitsISD_E11result_typeE,@function
_ZN12_GLOBAL__N_141elementwise_kernel_with_index_grid_strideIlZZZN2at6native17linspace_cuda_outERKN3c106ScalarES6_lRNS1_6TensorEENKUlvE_clEvENKUlvE0_clEvEUllE_EEvT_T0_PN15function_traitsISD_E11result_typeE: ; @_ZN12_GLOBAL__N_141elementwise_kernel_with_index_grid_strideIlZZZN2at6native17linspace_cuda_outERKN3c106ScalarES6_lRNS1_6TensorEENKUlvE_clEvENKUlvE0_clEvEUllE_EEvT_T0_PN15function_traitsISD_E11result_typeE
; %bb.0:
	s_load_dword s3, s[0:1], 0x3c
	s_load_dwordx2 s[6:7], s[0:1], 0x0
	s_add_u32 s4, s0, 48
	s_addc_u32 s5, s1, 0
	v_mov_b32_e32 v1, 0
	s_waitcnt lgkmcnt(0)
	s_and_b32 s3, s3, 0xffff
	v_mov_b32_e32 v2, s2
	v_mad_u64_u32 v[2:3], s[8:9], s3, v2, v[0:1]
	v_cmp_gt_i64_e32 vcc, s[6:7], v[2:3]
	s_and_saveexec_b64 s[8:9], vcc
	s_cbranch_execz .LBB3_16
; %bb.1:
	s_load_dword s52, s[4:5], 0x0
	v_mov_b32_e32 v4, s3
	s_mov_b32 s53, 0
	v_mov_b32_e32 v5, s53
	s_load_dword s18, s[0:1], 0x8
	s_waitcnt lgkmcnt(0)
	s_add_u32 s15, s2, s52
	s_addc_u32 s22, 0, 0
	s_mul_i32 s22, s22, s3
	v_mad_u64_u32 v[6:7], s[4:5], s15, v4, v[0:1]
	v_add_u32_e32 v7, s22, v7
	v_mov_b32_e32 v4, s7
	v_cmp_gt_i64_e32 vcc, s[6:7], v[6:7]
	s_mul_hi_u32 s13, s3, s52
	s_mul_i32 s12, s3, s52
	v_cndmask_b32_e32 v9, v7, v4, vcc
	v_mov_b32_e32 v4, s6
	v_cndmask_b32_e32 v8, v6, v4, vcc
	v_cndmask_b32_e64 v4, 0, 1, vcc
	v_lshl_add_u64 v[6:7], v[6:7], 0, v[4:5]
	v_sub_co_u32_e32 v8, vcc, v8, v6
	v_mov_b32_e32 v6, v1
	s_nop 0
	v_subb_co_u32_e32 v9, vcc, v9, v7, vcc
	v_or_b32_e32 v7, s13, v9
	v_cmp_ne_u64_e32 vcc, 0, v[6:7]
                                        ; implicit-def: $vgpr6_vgpr7
	s_and_saveexec_b64 s[4:5], vcc
	s_xor_b64 s[8:9], exec, s[4:5]
	s_cbranch_execz .LBB3_3
; %bb.2:
	v_cvt_f32_u32_e32 v6, s12
	v_cvt_f32_u32_e32 v7, s13
	s_sub_u32 s10, 0, s12
	s_subb_u32 s11, 0, s13
	v_mov_b32_e32 v11, 0
	v_fmamk_f32 v6, v7, 0x4f800000, v6
	v_rcp_f32_e32 v6, v6
	s_nop 0
	v_mul_f32_e32 v6, 0x5f7ffffc, v6
	v_mul_f32_e32 v7, 0x2f800000, v6
	v_trunc_f32_e32 v7, v7
	v_fmamk_f32 v6, v7, 0xcf800000, v6
	v_cvt_u32_f32_e32 v7, v7
	v_cvt_u32_f32_e32 v6, v6
	v_readfirstlane_b32 s14, v7
	v_readfirstlane_b32 s4, v6
	s_mul_i32 s5, s10, s14
	s_mul_hi_u32 s17, s10, s4
	s_mul_i32 s16, s11, s4
	s_add_i32 s5, s17, s5
	s_mul_i32 s19, s10, s4
	s_add_i32 s5, s5, s16
	s_mul_i32 s17, s4, s5
	s_mul_hi_u32 s20, s4, s19
	s_mul_hi_u32 s16, s4, s5
	s_add_u32 s17, s20, s17
	s_addc_u32 s16, 0, s16
	s_mul_hi_u32 s21, s14, s19
	s_mul_i32 s19, s14, s19
	s_add_u32 s17, s17, s19
	s_mul_hi_u32 s20, s14, s5
	s_addc_u32 s16, s16, s21
	s_addc_u32 s17, s20, 0
	s_mul_i32 s5, s14, s5
	s_add_u32 s5, s16, s5
	s_addc_u32 s16, 0, s17
	s_add_u32 s17, s4, s5
	s_cselect_b64 s[4:5], -1, 0
	s_cmp_lg_u64 s[4:5], 0
	s_addc_u32 s14, s14, s16
	s_mul_i32 s4, s10, s14
	s_mul_hi_u32 s5, s10, s17
	s_add_i32 s4, s5, s4
	s_mul_i32 s11, s11, s17
	s_add_i32 s4, s4, s11
	s_mul_i32 s10, s10, s17
	s_mul_hi_u32 s11, s14, s10
	s_mul_i32 s16, s14, s10
	s_mul_i32 s20, s17, s4
	s_mul_hi_u32 s10, s17, s10
	s_mul_hi_u32 s19, s17, s4
	s_add_u32 s10, s10, s20
	s_addc_u32 s19, 0, s19
	s_add_u32 s10, s10, s16
	s_mul_hi_u32 s5, s14, s4
	s_addc_u32 s10, s19, s11
	s_addc_u32 s5, s5, 0
	s_mul_i32 s4, s14, s4
	s_add_u32 s4, s10, s4
	s_addc_u32 s10, 0, s5
	s_add_u32 s11, s17, s4
	s_cselect_b64 s[4:5], -1, 0
	s_cmp_lg_u64 s[4:5], 0
	s_addc_u32 s10, s14, s10
	v_mad_u64_u32 v[6:7], s[4:5], v8, s10, 0
	v_mul_hi_u32 v10, v8, s11
	v_lshl_add_u64 v[6:7], v[10:11], 0, v[6:7]
	v_mad_u64_u32 v[14:15], s[4:5], v9, s11, 0
	v_add_co_u32_e32 v6, vcc, v6, v14
	v_mad_u64_u32 v[12:13], s[4:5], v9, s10, 0
	s_nop 0
	v_addc_co_u32_e32 v10, vcc, v7, v15, vcc
	s_nop 1
	v_addc_co_u32_e32 v13, vcc, 0, v13, vcc
	v_lshl_add_u64 v[6:7], v[10:11], 0, v[12:13]
	v_mul_lo_u32 v12, s13, v6
	v_mul_lo_u32 v13, s12, v7
	v_mad_u64_u32 v[10:11], s[4:5], s12, v6, 0
	v_add3_u32 v14, v11, v13, v12
	v_sub_u32_e32 v11, v9, v14
	v_mov_b32_e32 v12, s13
	v_sub_co_u32_e32 v8, vcc, v8, v10
	s_nop 1
	v_subb_co_u32_e64 v10, s[4:5], v11, v12, vcc
	v_subrev_co_u32_e64 v11, s[4:5], s12, v8
	v_subb_co_u32_e32 v9, vcc, v9, v14, vcc
	s_nop 0
	v_subbrev_co_u32_e64 v10, s[4:5], 0, v10, s[4:5]
	v_cmp_le_u32_e64 s[4:5], s13, v10
	v_cmp_le_u32_e32 vcc, s13, v9
	s_nop 0
	v_cndmask_b32_e64 v12, 0, -1, s[4:5]
	v_cmp_le_u32_e64 s[4:5], s12, v11
	s_nop 1
	v_cndmask_b32_e64 v11, 0, -1, s[4:5]
	v_cmp_eq_u32_e64 s[4:5], s13, v10
	s_nop 1
	v_cndmask_b32_e64 v15, v12, v11, s[4:5]
	v_lshl_add_u64 v[10:11], v[6:7], 0, 2
	v_lshl_add_u64 v[12:13], v[6:7], 0, 1
	v_cmp_ne_u32_e64 s[4:5], 0, v15
	s_nop 1
	v_cndmask_b32_e64 v11, v13, v11, s[4:5]
	v_cndmask_b32_e64 v13, 0, -1, vcc
	v_cmp_le_u32_e32 vcc, s12, v8
	s_nop 1
	v_cndmask_b32_e64 v8, 0, -1, vcc
	v_cmp_eq_u32_e32 vcc, s13, v9
	s_nop 1
	v_cndmask_b32_e32 v8, v13, v8, vcc
	v_cmp_ne_u32_e32 vcc, 0, v8
	v_cndmask_b32_e64 v8, v12, v10, s[4:5]
	s_nop 0
	v_cndmask_b32_e32 v7, v7, v11, vcc
	v_cndmask_b32_e32 v6, v6, v8, vcc
                                        ; implicit-def: $vgpr8
.LBB3_3:
	s_or_saveexec_b64 s[4:5], s[8:9]
	s_load_dwordx4 s[8:11], s[0:1], 0x20
	s_bfe_u32 s19, s18, 0x80008
	s_xor_b64 exec, exec, s[4:5]
	s_cbranch_execz .LBB3_5
; %bb.4:
	v_cvt_f32_u32_e32 v6, s12
	s_sub_i32 s14, 0, s12
	v_rcp_iflag_f32_e32 v6, v6
	s_nop 0
	v_mul_f32_e32 v6, 0x4f7ffffe, v6
	v_cvt_u32_f32_e32 v6, v6
	v_mul_lo_u32 v7, s14, v6
	v_mul_hi_u32 v7, v6, v7
	v_add_u32_e32 v6, v6, v7
	v_mul_hi_u32 v6, v8, v6
	v_mul_lo_u32 v7, v6, s12
	v_sub_u32_e32 v7, v8, v7
	v_add_u32_e32 v9, 1, v6
	v_subrev_u32_e32 v8, s12, v7
	v_cmp_le_u32_e32 vcc, s12, v7
	s_nop 1
	v_cndmask_b32_e32 v7, v7, v8, vcc
	v_cndmask_b32_e32 v6, v6, v9, vcc
	v_add_u32_e32 v8, 1, v6
	v_cmp_le_u32_e32 vcc, s12, v7
	v_mov_b32_e32 v7, 0
	s_nop 0
	v_cndmask_b32_e32 v6, v6, v8, vcc
.LBB3_5:
	s_or_b64 exec, exec, s[4:5]
	s_load_dwordx2 s[16:17], s[0:1], 0x10
	s_load_dword s14, s[0:1], 0x18
	s_bfe_i32 s0, s18, 0x80000
	s_bfe_i32 s1, s19, 0x80000
	s_sext_i32_i16 s1, s1
	s_sext_i32_i16 s0, s0
	v_cvt_f32_i32_e32 v12, s1
	v_cvt_f32_i32_e32 v14, s0
	v_lshl_add_u64 v[4:5], v[6:7], 0, v[4:5]
	v_lshl_add_u64 v[16:17], v[4:5], 0, 1
	v_cmp_lt_u64_e32 vcc, 3, v[16:17]
	s_mov_b64 s[0:1], -1
	s_and_saveexec_b64 s[18:19], vcc
	s_cbranch_execz .LBB3_9
; %bb.6:
	s_mul_hi_u32 s0, s15, s3
	s_add_i32 s23, s0, s22
	v_mad_u64_u32 v[8:9], s[0:1], s12, 3, v[2:3]
	v_mov_b32_e32 v10, v9
	v_mad_u64_u32 v[6:7], s[0:1], s12, 2, v[2:3]
	v_mad_u64_u32 v[4:5], s[0:1], s12, 1, v[2:3]
	v_mad_u64_u32 v[10:11], s[0:1], s13, 3, v[10:11]
	s_lshl_b64 s[42:43], s[12:13], 2
	s_mul_i32 s1, s52, 3
	s_mul_hi_u32 s0, s52, 3
	s_add_u32 s1, s1, s2
	s_addc_u32 s0, s0, 0
	s_mul_i32 s0, s0, s3
	s_mul_hi_u32 s4, s1, s3
	s_add_i32 s51, s4, s0
	s_mul_i32 s50, s1, s3
	s_lshl_b64 s[0:1], s[52:53], 1
	s_add_u32 s0, s0, s2
	v_lshl_add_u32 v7, s13, 1, v7
	v_add_u32_e32 v5, s13, v5
	v_mov_b32_e32 v9, v10
	s_addc_u32 s1, s1, 0
	s_mul_hi_u32 s21, s3, s2
	s_mul_i32 s20, s3, s2
	v_and_b32_e32 v18, -4, v16
	v_mov_b32_e32 v19, v17
	s_mul_i32 s1, s1, s3
	s_mul_hi_u32 s2, s0, s3
	v_mov_b64_e32 v[10:11], v[8:9]
	s_mul_i32 s22, s15, s3
	v_mov_b32_e32 v13, v12
	v_mov_b32_e32 v15, v14
	s_waitcnt lgkmcnt(0)
	s_mov_b32 s24, s8
	s_mov_b32 s25, s9
	;; [unrolled: 1-line block ×23, first 2 shown]
	v_lshl_add_u64 v[0:1], s[10:11], 0, v[0:1]
	s_add_i32 s53, s2, s1
	s_mul_i32 s52, s0, s3
	s_mov_b64 s[54:55], 0
	v_mov_b32_e32 v20, v12
	v_mov_b32_e32 v21, v12
	;; [unrolled: 1-line block ×4, first 2 shown]
	s_movk_i32 s33, 0xff
	v_mov_b64_e32 v[24:25], v[18:19]
	v_mov_b64_e32 v[8:9], v[6:7]
	v_mov_b64_e32 v[6:7], v[4:5]
	v_mov_b64_e32 v[4:5], v[2:3]
.LBB3_7:                                ; =>This Inner Loop Header: Depth=1
	v_not_b32_e32 v27, v7
	v_not_b32_e32 v26, v6
	;; [unrolled: 1-line block ×8, first 2 shown]
	v_ffbh_u32_e32 v42, v7
	v_ffbh_u32_e32 v43, v5
	;; [unrolled: 1-line block ×3, first 2 shown]
	v_lshl_add_u64 v[28:29], s[16:17], 0, v[28:29]
	v_lshl_add_u64 v[26:27], s[34:35], 0, v[26:27]
	v_ffbh_u32_e32 v45, v9
	v_lshl_add_u64 v[32:33], s[36:37], 0, v[32:33]
	v_lshl_add_u64 v[30:31], s[38:39], 0, v[30:31]
	v_min_u32_e32 v46, 32, v42
	v_min_u32_e32 v47, 32, v43
	;; [unrolled: 1-line block ×3, first 2 shown]
	v_xor_b32_e32 v51, v26, v27
	v_xor_b32_e32 v53, v28, v29
	v_min_u32_e32 v50, 32, v45
	v_ffbh_i32_e32 v52, v27
	v_ffbh_i32_e32 v54, v29
	v_xor_b32_e32 v55, v30, v31
	v_xor_b32_e32 v57, v32, v33
	v_lshlrev_b64 v[42:43], v46, v[6:7]
	v_sub_u32_e32 v59, 32, v46
	v_lshlrev_b64 v[44:45], v47, v[4:5]
	v_sub_u32_e32 v60, 32, v47
	v_lshlrev_b64 v[46:47], v48, v[10:11]
	v_ashrrev_i32_e32 v51, 31, v51
	v_ashrrev_i32_e32 v53, 31, v53
	v_ffbh_i32_e32 v56, v31
	v_ffbh_i32_e32 v58, v33
	v_sub_u32_e32 v61, 32, v48
	v_lshlrev_b64 v[48:49], v50, v[8:9]
	v_add_u32_e32 v52, -1, v52
	v_add_u32_e32 v54, -1, v54
	v_ashrrev_i32_e32 v55, 31, v55
	v_ashrrev_i32_e32 v57, 31, v57
	v_min_u32_e32 v42, 1, v42
	v_min_u32_e32 v44, 1, v44
	;; [unrolled: 1-line block ×3, first 2 shown]
	v_add_u32_e32 v51, 32, v51
	v_add_u32_e32 v53, 32, v53
	v_add_u32_e32 v56, -1, v56
	v_add_u32_e32 v58, -1, v58
	v_min_u32_e32 v48, 1, v48
	v_add_u32_e32 v55, 32, v55
	v_add_u32_e32 v57, 32, v57
	v_or_b32_e32 v42, v43, v42
	v_or_b32_e32 v43, v45, v44
	v_or_b32_e32 v44, v47, v46
	v_min_u32_e32 v46, v52, v51
	v_min_u32_e32 v47, v54, v53
	v_or_b32_e32 v45, v49, v48
	v_min_u32_e32 v48, v56, v55
	v_min_u32_e32 v49, v58, v57
	v_lshlrev_b64 v[26:27], v46, v[26:27]
	v_lshlrev_b64 v[28:29], v47, v[28:29]
	v_lshlrev_b64 v[30:31], v48, v[30:31]
	v_lshlrev_b64 v[32:33], v49, v[32:33]
	v_min_u32_e32 v26, 1, v26
	v_min_u32_e32 v28, 1, v28
	;; [unrolled: 1-line block ×4, first 2 shown]
	v_or_b32_e32 v26, v27, v26
	v_or_b32_e32 v27, v29, v28
	v_cvt_f32_u32_e32 v42, v42
	v_cvt_f32_u32_e32 v43, v43
	v_or_b32_e32 v28, v31, v30
	v_or_b32_e32 v29, v33, v32
	v_cvt_f32_i32_e32 v30, v26
	v_cvt_f32_i32_e32 v32, v27
	v_cvt_f32_u32_e32 v44, v44
	v_cvt_f32_u32_e32 v45, v45
	v_cvt_f32_i32_e32 v33, v28
	v_cvt_f32_i32_e32 v51, v29
	v_sub_u32_e32 v46, 32, v46
	v_sub_u32_e32 v47, 32, v47
	v_ldexp_f32 v27, v42, v59
	v_ldexp_f32 v26, v43, v60
	;; [unrolled: 1-line block ×4, first 2 shown]
	v_lshl_add_u64 v[24:25], v[24:25], 0, -4
	v_sub_u32_e32 v50, 32, v50
	v_sub_u32_e32 v48, 32, v48
	;; [unrolled: 1-line block ×3, first 2 shown]
	v_pk_fma_f32 v[26:27], s[14:15], v[26:27], v[14:15]
	v_pk_fma_f32 v[30:31], s[14:15], v[30:31], v[12:13] neg_lo:[1,0,0] neg_hi:[1,0,0]
	v_cmp_gt_i64_e64 s[2:3], s[26:27], v[6:7]
	v_cmp_gt_i64_e64 s[4:5], s[24:25], v[4:5]
	s_xor_b32 s1, s41, 0x80000000
	s_xor_b32 s0, s40, 0x80000000
	v_cmp_eq_u64_e32 vcc, 0, v[24:25]
	v_ldexp_f32 v29, v44, v61
	v_ldexp_f32 v28, v45, v50
	;; [unrolled: 1-line block ×4, first 2 shown]
	v_cndmask_b32_e64 v26, v30, v26, s[4:5]
	v_cndmask_b32_e64 v27, v31, v27, s[2:3]
	s_or_b64 s[54:55], vcc, s[54:55]
	v_pk_fma_f32 v[28:29], s[40:41], v[28:29], v[22:23]
	v_pk_fma_f32 v[32:33], s[0:1], v[32:33], v[20:21]
	v_cmp_gt_i64_e32 vcc, s[30:31], v[10:11]
	v_cmp_gt_i64_e64 s[0:1], s[28:29], v[8:9]
	v_cvt_i32_f32_sdwa v27, v27 dst_sel:BYTE_1 dst_unused:UNUSED_PAD src0_sel:DWORD
	v_cvt_i32_f32_e32 v26, v26
	v_cndmask_b32_e64 v28, v32, v28, s[0:1]
	v_cndmask_b32_e32 v29, v33, v29, vcc
	v_cvt_i32_f32_sdwa v29, v29 dst_sel:BYTE_1 dst_unused:UNUSED_PAD src0_sel:DWORD
	v_cvt_i32_f32_e32 v28, v28
	v_bitop3_b16 v26, v26, v27, s33 bitop3:0xec
	v_lshl_add_u64 v[34:35], v[0:1], 0, s[20:21]
	v_and_b32_e32 v26, 0xffff, v26
	v_lshl_add_u64 v[36:37], v[0:1], 0, s[22:23]
	v_lshl_add_u64 v[38:39], v[0:1], 0, s[52:53]
	v_lshl_add_u64 v[40:41], v[0:1], 0, s[50:51]
	v_lshl_add_u64 v[0:1], v[0:1], 0, s[42:43]
	v_lshl_add_u64 v[10:11], v[10:11], 0, s[48:49]
	v_lshl_add_u64 v[8:9], v[8:9], 0, s[46:47]
	v_lshl_add_u64 v[6:7], v[6:7], 0, s[44:45]
	v_lshl_add_u64 v[4:5], v[4:5], 0, s[42:43]
	v_bitop3_b16 v28, v28, v29, s33 bitop3:0xec
	global_store_byte v[34:35], v26, off
	v_lshrrev_b32_e32 v26, 8, v26
	v_lshrrev_b32_e32 v27, 8, v28
	global_store_byte v[36:37], v26, off
	global_store_byte v[38:39], v28, off
	;; [unrolled: 1-line block ×3, first 2 shown]
	s_andn2_b64 exec, exec, s[54:55]
	s_cbranch_execnz .LBB3_7
; %bb.8:
	s_or_b64 exec, exec, s[54:55]
	v_mad_u64_u32 v[2:3], s[0:1], v18, s12, v[2:3]
	v_mul_lo_u32 v0, v18, s13
	v_mul_lo_u32 v1, v19, s12
	v_cmp_ne_u64_e32 vcc, v[16:17], v[18:19]
	v_add3_u32 v3, v1, v3, v0
	s_orn2_b64 s[0:1], vcc, exec
.LBB3_9:
	s_or_b64 exec, exec, s[18:19]
	s_and_b64 exec, exec, s[0:1]
	s_cbranch_execz .LBB3_16
; %bb.10:
	v_not_b32_e32 v1, v3
	v_not_b32_e32 v0, v2
	s_waitcnt lgkmcnt(0)
	v_lshl_add_u64 v[0:1], v[0:1], 0, s[16:17]
	s_mov_b64 s[0:1], 0
	v_mov_b32_e32 v4, s13
	s_branch .LBB3_12
.LBB3_11:                               ;   in Loop: Header=BB3_12 Depth=1
	s_or_b64 exec, exec, s[2:3]
	v_cvt_i32_f32_e32 v5, v5
	v_lshl_add_u64 v[6:7], s[10:11], 0, v[2:3]
	v_lshl_add_u64 v[2:3], v[2:3], 0, s[12:13]
	v_cmp_le_i64_e32 vcc, s[6:7], v[2:3]
	s_or_b64 s[0:1], vcc, s[0:1]
	v_subrev_co_u32_e32 v0, vcc, s12, v0
	global_store_byte v[6:7], v5, off
	s_nop 0
	v_subb_co_u32_e32 v1, vcc, v1, v4, vcc
	s_andn2_b64 exec, exec, s[0:1]
	s_cbranch_execz .LBB3_16
.LBB3_12:                               ; =>This Inner Loop Header: Depth=1
	v_cmp_le_i64_e32 vcc, s[8:9], v[2:3]
                                        ; implicit-def: $vgpr5
	s_and_saveexec_b64 s[2:3], vcc
	s_xor_b64 s[2:3], exec, s[2:3]
	s_cbranch_execz .LBB3_14
; %bb.13:                               ;   in Loop: Header=BB3_12 Depth=1
	v_xor_b32_e32 v6, v0, v1
	v_ffbh_i32_e32 v5, v1
	v_ashrrev_i32_e32 v6, 31, v6
	v_add_u32_e32 v5, -1, v5
	v_add_u32_e32 v6, 32, v6
	v_min_u32_e32 v5, v5, v6
	v_lshlrev_b64 v[6:7], v5, v[0:1]
	v_min_u32_e32 v6, 1, v6
	v_or_b32_e32 v6, v7, v6
	v_cvt_f32_i32_e32 v6, v6
	v_sub_u32_e32 v5, 32, v5
	v_ldexp_f32 v5, v6, v5
	v_fma_f32 v5, -s14, v5, v12
.LBB3_14:                               ;   in Loop: Header=BB3_12 Depth=1
	s_andn2_saveexec_b64 s[2:3], s[2:3]
	s_cbranch_execz .LBB3_11
; %bb.15:                               ;   in Loop: Header=BB3_12 Depth=1
	v_ffbh_u32_e32 v5, v3
	v_min_u32_e32 v5, 32, v5
	v_lshlrev_b64 v[6:7], v5, v[2:3]
	v_min_u32_e32 v6, 1, v6
	v_or_b32_e32 v6, v7, v6
	v_cvt_f32_u32_e32 v6, v6
	v_sub_u32_e32 v5, 32, v5
	v_ldexp_f32 v5, v6, v5
	v_fma_f32 v5, s14, v5, v14
	s_branch .LBB3_11
.LBB3_16:
	s_endpgm
	.section	.rodata,"a",@progbits
	.p2align	6, 0x0
	.amdhsa_kernel _ZN12_GLOBAL__N_141elementwise_kernel_with_index_grid_strideIlZZZN2at6native17linspace_cuda_outERKN3c106ScalarES6_lRNS1_6TensorEENKUlvE_clEvENKUlvE0_clEvEUllE_EEvT_T0_PN15function_traitsISD_E11result_typeE
		.amdhsa_group_segment_fixed_size 0
		.amdhsa_private_segment_fixed_size 0
		.amdhsa_kernarg_size 304
		.amdhsa_user_sgpr_count 2
		.amdhsa_user_sgpr_dispatch_ptr 0
		.amdhsa_user_sgpr_queue_ptr 0
		.amdhsa_user_sgpr_kernarg_segment_ptr 1
		.amdhsa_user_sgpr_dispatch_id 0
		.amdhsa_user_sgpr_kernarg_preload_length 0
		.amdhsa_user_sgpr_kernarg_preload_offset 0
		.amdhsa_user_sgpr_private_segment_size 0
		.amdhsa_uses_dynamic_stack 0
		.amdhsa_enable_private_segment 0
		.amdhsa_system_sgpr_workgroup_id_x 1
		.amdhsa_system_sgpr_workgroup_id_y 0
		.amdhsa_system_sgpr_workgroup_id_z 0
		.amdhsa_system_sgpr_workgroup_info 0
		.amdhsa_system_vgpr_workitem_id 0
		.amdhsa_next_free_vgpr 62
		.amdhsa_next_free_sgpr 56
		.amdhsa_accum_offset 64
		.amdhsa_reserve_vcc 1
		.amdhsa_float_round_mode_32 0
		.amdhsa_float_round_mode_16_64 0
		.amdhsa_float_denorm_mode_32 3
		.amdhsa_float_denorm_mode_16_64 3
		.amdhsa_dx10_clamp 1
		.amdhsa_ieee_mode 1
		.amdhsa_fp16_overflow 0
		.amdhsa_tg_split 0
		.amdhsa_exception_fp_ieee_invalid_op 0
		.amdhsa_exception_fp_denorm_src 0
		.amdhsa_exception_fp_ieee_div_zero 0
		.amdhsa_exception_fp_ieee_overflow 0
		.amdhsa_exception_fp_ieee_underflow 0
		.amdhsa_exception_fp_ieee_inexact 0
		.amdhsa_exception_int_div_zero 0
	.end_amdhsa_kernel
	.section	.text._ZN12_GLOBAL__N_141elementwise_kernel_with_index_grid_strideIlZZZN2at6native17linspace_cuda_outERKN3c106ScalarES6_lRNS1_6TensorEENKUlvE_clEvENKUlvE0_clEvEUllE_EEvT_T0_PN15function_traitsISD_E11result_typeE,"axG",@progbits,_ZN12_GLOBAL__N_141elementwise_kernel_with_index_grid_strideIlZZZN2at6native17linspace_cuda_outERKN3c106ScalarES6_lRNS1_6TensorEENKUlvE_clEvENKUlvE0_clEvEUllE_EEvT_T0_PN15function_traitsISD_E11result_typeE,comdat
.Lfunc_end3:
	.size	_ZN12_GLOBAL__N_141elementwise_kernel_with_index_grid_strideIlZZZN2at6native17linspace_cuda_outERKN3c106ScalarES6_lRNS1_6TensorEENKUlvE_clEvENKUlvE0_clEvEUllE_EEvT_T0_PN15function_traitsISD_E11result_typeE, .Lfunc_end3-_ZN12_GLOBAL__N_141elementwise_kernel_with_index_grid_strideIlZZZN2at6native17linspace_cuda_outERKN3c106ScalarES6_lRNS1_6TensorEENKUlvE_clEvENKUlvE0_clEvEUllE_EEvT_T0_PN15function_traitsISD_E11result_typeE
                                        ; -- End function
	.set _ZN12_GLOBAL__N_141elementwise_kernel_with_index_grid_strideIlZZZN2at6native17linspace_cuda_outERKN3c106ScalarES6_lRNS1_6TensorEENKUlvE_clEvENKUlvE0_clEvEUllE_EEvT_T0_PN15function_traitsISD_E11result_typeE.num_vgpr, 62
	.set _ZN12_GLOBAL__N_141elementwise_kernel_with_index_grid_strideIlZZZN2at6native17linspace_cuda_outERKN3c106ScalarES6_lRNS1_6TensorEENKUlvE_clEvENKUlvE0_clEvEUllE_EEvT_T0_PN15function_traitsISD_E11result_typeE.num_agpr, 0
	.set _ZN12_GLOBAL__N_141elementwise_kernel_with_index_grid_strideIlZZZN2at6native17linspace_cuda_outERKN3c106ScalarES6_lRNS1_6TensorEENKUlvE_clEvENKUlvE0_clEvEUllE_EEvT_T0_PN15function_traitsISD_E11result_typeE.numbered_sgpr, 56
	.set _ZN12_GLOBAL__N_141elementwise_kernel_with_index_grid_strideIlZZZN2at6native17linspace_cuda_outERKN3c106ScalarES6_lRNS1_6TensorEENKUlvE_clEvENKUlvE0_clEvEUllE_EEvT_T0_PN15function_traitsISD_E11result_typeE.num_named_barrier, 0
	.set _ZN12_GLOBAL__N_141elementwise_kernel_with_index_grid_strideIlZZZN2at6native17linspace_cuda_outERKN3c106ScalarES6_lRNS1_6TensorEENKUlvE_clEvENKUlvE0_clEvEUllE_EEvT_T0_PN15function_traitsISD_E11result_typeE.private_seg_size, 0
	.set _ZN12_GLOBAL__N_141elementwise_kernel_with_index_grid_strideIlZZZN2at6native17linspace_cuda_outERKN3c106ScalarES6_lRNS1_6TensorEENKUlvE_clEvENKUlvE0_clEvEUllE_EEvT_T0_PN15function_traitsISD_E11result_typeE.uses_vcc, 1
	.set _ZN12_GLOBAL__N_141elementwise_kernel_with_index_grid_strideIlZZZN2at6native17linspace_cuda_outERKN3c106ScalarES6_lRNS1_6TensorEENKUlvE_clEvENKUlvE0_clEvEUllE_EEvT_T0_PN15function_traitsISD_E11result_typeE.uses_flat_scratch, 0
	.set _ZN12_GLOBAL__N_141elementwise_kernel_with_index_grid_strideIlZZZN2at6native17linspace_cuda_outERKN3c106ScalarES6_lRNS1_6TensorEENKUlvE_clEvENKUlvE0_clEvEUllE_EEvT_T0_PN15function_traitsISD_E11result_typeE.has_dyn_sized_stack, 0
	.set _ZN12_GLOBAL__N_141elementwise_kernel_with_index_grid_strideIlZZZN2at6native17linspace_cuda_outERKN3c106ScalarES6_lRNS1_6TensorEENKUlvE_clEvENKUlvE0_clEvEUllE_EEvT_T0_PN15function_traitsISD_E11result_typeE.has_recursion, 0
	.set _ZN12_GLOBAL__N_141elementwise_kernel_with_index_grid_strideIlZZZN2at6native17linspace_cuda_outERKN3c106ScalarES6_lRNS1_6TensorEENKUlvE_clEvENKUlvE0_clEvEUllE_EEvT_T0_PN15function_traitsISD_E11result_typeE.has_indirect_call, 0
	.section	.AMDGPU.csdata,"",@progbits
; Kernel info:
; codeLenInByte = 2332
; TotalNumSgprs: 62
; NumVgprs: 62
; NumAgprs: 0
; TotalNumVgprs: 62
; ScratchSize: 0
; MemoryBound: 0
; FloatMode: 240
; IeeeMode: 1
; LDSByteSize: 0 bytes/workgroup (compile time only)
; SGPRBlocks: 7
; VGPRBlocks: 7
; NumSGPRsForWavesPerEU: 62
; NumVGPRsForWavesPerEU: 62
; AccumOffset: 64
; Occupancy: 8
; WaveLimiterHint : 0
; COMPUTE_PGM_RSRC2:SCRATCH_EN: 0
; COMPUTE_PGM_RSRC2:USER_SGPR: 2
; COMPUTE_PGM_RSRC2:TRAP_HANDLER: 0
; COMPUTE_PGM_RSRC2:TGID_X_EN: 1
; COMPUTE_PGM_RSRC2:TGID_Y_EN: 0
; COMPUTE_PGM_RSRC2:TGID_Z_EN: 0
; COMPUTE_PGM_RSRC2:TIDIG_COMP_CNT: 0
; COMPUTE_PGM_RSRC3_GFX90A:ACCUM_OFFSET: 15
; COMPUTE_PGM_RSRC3_GFX90A:TG_SPLIT: 0
	.section	.text._ZN12_GLOBAL__N_141elementwise_kernel_with_index_grid_strideIiZZZN2at6native17linspace_cuda_outERKN3c106ScalarES6_lRNS1_6TensorEENKUlvE_clEvENKUlvE1_clEvEUllE_EEvT_T0_PN15function_traitsISD_E11result_typeE,"axG",@progbits,_ZN12_GLOBAL__N_141elementwise_kernel_with_index_grid_strideIiZZZN2at6native17linspace_cuda_outERKN3c106ScalarES6_lRNS1_6TensorEENKUlvE_clEvENKUlvE1_clEvEUllE_EEvT_T0_PN15function_traitsISD_E11result_typeE,comdat
	.globl	_ZN12_GLOBAL__N_141elementwise_kernel_with_index_grid_strideIiZZZN2at6native17linspace_cuda_outERKN3c106ScalarES6_lRNS1_6TensorEENKUlvE_clEvENKUlvE1_clEvEUllE_EEvT_T0_PN15function_traitsISD_E11result_typeE ; -- Begin function _ZN12_GLOBAL__N_141elementwise_kernel_with_index_grid_strideIiZZZN2at6native17linspace_cuda_outERKN3c106ScalarES6_lRNS1_6TensorEENKUlvE_clEvENKUlvE1_clEvEUllE_EEvT_T0_PN15function_traitsISD_E11result_typeE
	.p2align	8
	.type	_ZN12_GLOBAL__N_141elementwise_kernel_with_index_grid_strideIiZZZN2at6native17linspace_cuda_outERKN3c106ScalarES6_lRNS1_6TensorEENKUlvE_clEvENKUlvE1_clEvEUllE_EEvT_T0_PN15function_traitsISD_E11result_typeE,@function
_ZN12_GLOBAL__N_141elementwise_kernel_with_index_grid_strideIiZZZN2at6native17linspace_cuda_outERKN3c106ScalarES6_lRNS1_6TensorEENKUlvE_clEvENKUlvE1_clEvEUllE_EEvT_T0_PN15function_traitsISD_E11result_typeE: ; @_ZN12_GLOBAL__N_141elementwise_kernel_with_index_grid_strideIiZZZN2at6native17linspace_cuda_outERKN3c106ScalarES6_lRNS1_6TensorEENKUlvE_clEvENKUlvE1_clEvEUllE_EEvT_T0_PN15function_traitsISD_E11result_typeE
; %bb.0:
	s_load_dword s3, s[0:1], 0x3c
	s_load_dword s22, s[0:1], 0x0
	s_add_u32 s14, s0, 48
	s_addc_u32 s15, s1, 0
	s_waitcnt lgkmcnt(0)
	s_and_b32 s3, s3, 0xffff
	s_mul_i32 s4, s2, s3
	v_add_u32_e32 v2, s4, v0
	v_cmp_gt_i32_e32 vcc, s22, v2
	s_and_saveexec_b64 s[4:5], vcc
	s_cbranch_execz .LBB4_12
; %bb.1:
	s_load_dword s13, s[14:15], 0x0
	s_load_dwordx4 s[8:11], s[0:1], 0x8
	s_load_dword s12, s[0:1], 0x18
	s_load_dwordx4 s[4:7], s[0:1], 0x20
	s_waitcnt lgkmcnt(0)
	s_mul_i32 s14, s13, s3
	v_cvt_f32_u32_e32 v1, s14
	s_add_i32 s0, s2, s13
	s_mul_i32 s0, s0, s3
	v_add_u32_e32 v3, s0, v0
	v_rcp_iflag_f32_e32 v1, v1
	v_mov_b32_e32 v5, s0
	v_cmp_gt_i32_e32 vcc, s22, v3
	v_max_i32_e32 v7, s22, v3
	v_mul_f32_e32 v1, 0x4f7ffffe, v1
	v_cvt_u32_f32_e32 v1, v1
	v_addc_co_u32_e64 v0, s[0:1], v0, v5, vcc
	s_sub_i32 s0, 0, s14
	s_nop 0
	v_mul_lo_u32 v3, s0, v1
	v_mul_hi_u32 v3, v1, v3
	v_sub_u32_e32 v0, v7, v0
	v_add_u32_e32 v1, v1, v3
	v_mul_hi_u32 v1, v0, v1
	v_mul_lo_u32 v3, v1, s14
	v_sub_u32_e32 v0, v0, v3
	v_add_u32_e32 v3, 1, v1
	v_cmp_le_u32_e64 s[0:1], s14, v0
	v_cvt_f32_i32_e32 v4, s9
	v_cvt_f32_i32_e32 v6, s8
	v_cndmask_b32_e64 v1, v1, v3, s[0:1]
	v_subrev_u32_e32 v3, s14, v0
	v_cndmask_b32_e64 v0, v0, v3, s[0:1]
	v_add_u32_e32 v3, 1, v1
	v_cmp_le_u32_e64 s[0:1], s14, v0
	s_nop 1
	v_cndmask_b32_e64 v0, v1, v3, s[0:1]
	v_addc_co_u32_e32 v8, vcc, 1, v0, vcc
	v_cmp_lt_u32_e32 vcc, 1, v8
	s_mov_b64 s[0:1], -1
	s_and_saveexec_b64 s[2:3], vcc
	s_cbranch_execz .LBB4_5
; %bb.2:
	v_and_b32_e32 v9, -2, v8
	v_add_u32_e32 v3, s14, v2
	s_lshl_b32 s15, s14, 1
	v_mov_b32_e32 v5, v4
	v_mov_b32_e32 v7, v6
	s_mov_b32 s8, s4
	s_mov_b32 s9, s5
	;; [unrolled: 1-line block ×8, first 2 shown]
	s_mov_b64 s[20:21], 0
	v_mov_b32_e32 v10, v9
	v_mov_b64_e32 v[0:1], v[2:3]
.LBB4_3:                                ; =>This Inner Loop Header: Depth=1
	v_xor_b32_e32 v16, -1, v1
	v_xor_b32_e32 v18, -1, v0
	v_ashrrev_i32_e32 v17, 31, v16
	v_ashrrev_i32_e32 v19, 31, v18
	v_lshl_add_u64 v[18:19], s[18:19], 0, v[18:19]
	v_lshl_add_u64 v[16:17], s[10:11], 0, v[16:17]
	v_xor_b32_e32 v3, v16, v17
	v_xor_b32_e32 v26, v18, v19
	v_ffbh_i32_e32 v11, v17
	v_ffbh_i32_e32 v27, v19
	v_ashrrev_i32_e32 v3, 31, v3
	v_ashrrev_i32_e32 v26, 31, v26
	v_add_u32_e32 v11, -1, v11
	v_add_u32_e32 v27, -1, v27
	v_add_u32_e32 v3, 32, v3
	v_add_u32_e32 v26, 32, v26
	v_min_u32_e32 v3, v11, v3
	v_min_u32_e32 v11, v27, v26
	v_lshlrev_b64 v[16:17], v3, v[16:17]
	v_lshlrev_b64 v[18:19], v11, v[18:19]
	v_min_u32_e32 v16, 1, v16
	v_min_u32_e32 v18, 1, v18
	v_or_b32_e32 v16, v17, v16
	v_or_b32_e32 v17, v19, v18
	v_cvt_f32_i32_e32 v16, v16
	v_cvt_f32_i32_e32 v18, v17
	;; [unrolled: 1-line block ×4, first 2 shown]
	v_sub_u32_e32 v3, 32, v3
	v_sub_u32_e32 v11, 32, v11
	v_ashrrev_i32_e32 v13, 31, v0
	v_mov_b32_e32 v12, v0
	v_ldexp_f32 v17, v16, v3
	v_ldexp_f32 v16, v18, v11
	v_ashrrev_i32_e32 v15, 31, v1
	v_mov_b32_e32 v14, v1
	v_pk_fma_f32 v[20:21], s[12:13], v[20:21], v[6:7]
	v_pk_fma_f32 v[16:17], s[12:13], v[16:17], v[4:5] neg_lo:[1,0,0] neg_hi:[1,0,0]
	v_cmp_gt_i64_e64 s[0:1], s[8:9], v[12:13]
	v_cmp_gt_i64_e32 vcc, s[16:17], v[14:15]
	v_add_u32_e32 v10, -2, v10
	v_cndmask_b32_e64 v3, v16, v20, s[0:1]
	v_cndmask_b32_e32 v11, v17, v21, vcc
	v_cvt_i32_f32_e32 v3, v3
	v_cvt_i32_f32_e32 v11, v11
	v_cmp_eq_u32_e32 vcc, 0, v10
	v_add_u32_e32 v1, s23, v1
	v_add_u32_e32 v0, s15, v0
	v_lshl_add_u64 v[22:23], v[12:13], 2, s[6:7]
	s_or_b64 s[20:21], vcc, s[20:21]
	v_lshl_add_u64 v[24:25], v[14:15], 2, s[6:7]
	global_store_dword v[22:23], v3, off
	global_store_dword v[24:25], v11, off
	s_andn2_b64 exec, exec, s[20:21]
	s_cbranch_execnz .LBB4_3
; %bb.4:
	s_or_b64 exec, exec, s[20:21]
	v_mad_u64_u32 v[2:3], s[0:1], v9, s14, v[2:3]
	v_cmp_ne_u32_e32 vcc, v8, v9
	s_orn2_b64 s[0:1], vcc, exec
.LBB4_5:
	s_or_b64 exec, exec, s[2:3]
	s_and_b64 exec, exec, s[0:1]
	s_cbranch_execz .LBB4_12
; %bb.6:
	v_ashrrev_i32_e32 v3, 31, v2
	v_not_b32_e32 v1, v3
	v_not_b32_e32 v0, v2
	s_ashr_i32 s15, s14, 31
	v_lshl_add_u64 v[0:1], v[0:1], 0, s[10:11]
	v_lshl_add_u64 v[8:9], v[2:3], 2, s[6:7]
	s_lshl_b64 s[0:1], s[14:15], 2
	s_mov_b64 s[2:3], 0
	v_mov_b32_e32 v5, s15
	s_branch .LBB4_8
.LBB4_7:                                ;   in Loop: Header=BB4_8 Depth=1
	s_or_b64 exec, exec, s[6:7]
	v_cvt_i32_f32_e32 v7, v7
	v_subrev_co_u32_e32 v0, vcc, s14, v0
	v_lshl_add_u64 v[2:3], v[2:3], 0, s[14:15]
	s_nop 0
	v_subb_co_u32_e32 v1, vcc, v1, v5, vcc
	v_cmp_le_i32_e32 vcc, s22, v2
	global_store_dword v[8:9], v7, off
	s_or_b64 s[2:3], vcc, s[2:3]
	v_lshl_add_u64 v[8:9], v[8:9], 0, s[0:1]
	s_andn2_b64 exec, exec, s[2:3]
	s_cbranch_execz .LBB4_12
.LBB4_8:                                ; =>This Inner Loop Header: Depth=1
	v_cmp_le_i64_e32 vcc, s[4:5], v[2:3]
                                        ; implicit-def: $vgpr7
	s_and_saveexec_b64 s[6:7], vcc
	s_xor_b64 s[6:7], exec, s[6:7]
	s_cbranch_execz .LBB4_10
; %bb.9:                                ;   in Loop: Header=BB4_8 Depth=1
	v_xor_b32_e32 v10, v0, v1
	v_ffbh_i32_e32 v7, v1
	v_ashrrev_i32_e32 v10, 31, v10
	v_add_u32_e32 v7, -1, v7
	v_add_u32_e32 v10, 32, v10
	v_min_u32_e32 v7, v7, v10
	v_lshlrev_b64 v[10:11], v7, v[0:1]
	v_min_u32_e32 v10, 1, v10
	v_or_b32_e32 v10, v11, v10
	v_cvt_f32_i32_e32 v10, v10
	v_sub_u32_e32 v7, 32, v7
	v_ldexp_f32 v7, v10, v7
	v_fma_f32 v7, -s12, v7, v4
.LBB4_10:                               ;   in Loop: Header=BB4_8 Depth=1
	s_andn2_saveexec_b64 s[6:7], s[6:7]
	s_cbranch_execz .LBB4_7
; %bb.11:                               ;   in Loop: Header=BB4_8 Depth=1
	v_cvt_f32_i32_e32 v7, v2
	v_fma_f32 v7, s12, v7, v6
	s_branch .LBB4_7
.LBB4_12:
	s_endpgm
	.section	.rodata,"a",@progbits
	.p2align	6, 0x0
	.amdhsa_kernel _ZN12_GLOBAL__N_141elementwise_kernel_with_index_grid_strideIiZZZN2at6native17linspace_cuda_outERKN3c106ScalarES6_lRNS1_6TensorEENKUlvE_clEvENKUlvE1_clEvEUllE_EEvT_T0_PN15function_traitsISD_E11result_typeE
		.amdhsa_group_segment_fixed_size 0
		.amdhsa_private_segment_fixed_size 0
		.amdhsa_kernarg_size 304
		.amdhsa_user_sgpr_count 2
		.amdhsa_user_sgpr_dispatch_ptr 0
		.amdhsa_user_sgpr_queue_ptr 0
		.amdhsa_user_sgpr_kernarg_segment_ptr 1
		.amdhsa_user_sgpr_dispatch_id 0
		.amdhsa_user_sgpr_kernarg_preload_length 0
		.amdhsa_user_sgpr_kernarg_preload_offset 0
		.amdhsa_user_sgpr_private_segment_size 0
		.amdhsa_uses_dynamic_stack 0
		.amdhsa_enable_private_segment 0
		.amdhsa_system_sgpr_workgroup_id_x 1
		.amdhsa_system_sgpr_workgroup_id_y 0
		.amdhsa_system_sgpr_workgroup_id_z 0
		.amdhsa_system_sgpr_workgroup_info 0
		.amdhsa_system_vgpr_workitem_id 0
		.amdhsa_next_free_vgpr 28
		.amdhsa_next_free_sgpr 24
		.amdhsa_accum_offset 28
		.amdhsa_reserve_vcc 1
		.amdhsa_float_round_mode_32 0
		.amdhsa_float_round_mode_16_64 0
		.amdhsa_float_denorm_mode_32 3
		.amdhsa_float_denorm_mode_16_64 3
		.amdhsa_dx10_clamp 1
		.amdhsa_ieee_mode 1
		.amdhsa_fp16_overflow 0
		.amdhsa_tg_split 0
		.amdhsa_exception_fp_ieee_invalid_op 0
		.amdhsa_exception_fp_denorm_src 0
		.amdhsa_exception_fp_ieee_div_zero 0
		.amdhsa_exception_fp_ieee_overflow 0
		.amdhsa_exception_fp_ieee_underflow 0
		.amdhsa_exception_fp_ieee_inexact 0
		.amdhsa_exception_int_div_zero 0
	.end_amdhsa_kernel
	.section	.text._ZN12_GLOBAL__N_141elementwise_kernel_with_index_grid_strideIiZZZN2at6native17linspace_cuda_outERKN3c106ScalarES6_lRNS1_6TensorEENKUlvE_clEvENKUlvE1_clEvEUllE_EEvT_T0_PN15function_traitsISD_E11result_typeE,"axG",@progbits,_ZN12_GLOBAL__N_141elementwise_kernel_with_index_grid_strideIiZZZN2at6native17linspace_cuda_outERKN3c106ScalarES6_lRNS1_6TensorEENKUlvE_clEvENKUlvE1_clEvEUllE_EEvT_T0_PN15function_traitsISD_E11result_typeE,comdat
.Lfunc_end4:
	.size	_ZN12_GLOBAL__N_141elementwise_kernel_with_index_grid_strideIiZZZN2at6native17linspace_cuda_outERKN3c106ScalarES6_lRNS1_6TensorEENKUlvE_clEvENKUlvE1_clEvEUllE_EEvT_T0_PN15function_traitsISD_E11result_typeE, .Lfunc_end4-_ZN12_GLOBAL__N_141elementwise_kernel_with_index_grid_strideIiZZZN2at6native17linspace_cuda_outERKN3c106ScalarES6_lRNS1_6TensorEENKUlvE_clEvENKUlvE1_clEvEUllE_EEvT_T0_PN15function_traitsISD_E11result_typeE
                                        ; -- End function
	.set _ZN12_GLOBAL__N_141elementwise_kernel_with_index_grid_strideIiZZZN2at6native17linspace_cuda_outERKN3c106ScalarES6_lRNS1_6TensorEENKUlvE_clEvENKUlvE1_clEvEUllE_EEvT_T0_PN15function_traitsISD_E11result_typeE.num_vgpr, 28
	.set _ZN12_GLOBAL__N_141elementwise_kernel_with_index_grid_strideIiZZZN2at6native17linspace_cuda_outERKN3c106ScalarES6_lRNS1_6TensorEENKUlvE_clEvENKUlvE1_clEvEUllE_EEvT_T0_PN15function_traitsISD_E11result_typeE.num_agpr, 0
	.set _ZN12_GLOBAL__N_141elementwise_kernel_with_index_grid_strideIiZZZN2at6native17linspace_cuda_outERKN3c106ScalarES6_lRNS1_6TensorEENKUlvE_clEvENKUlvE1_clEvEUllE_EEvT_T0_PN15function_traitsISD_E11result_typeE.numbered_sgpr, 24
	.set _ZN12_GLOBAL__N_141elementwise_kernel_with_index_grid_strideIiZZZN2at6native17linspace_cuda_outERKN3c106ScalarES6_lRNS1_6TensorEENKUlvE_clEvENKUlvE1_clEvEUllE_EEvT_T0_PN15function_traitsISD_E11result_typeE.num_named_barrier, 0
	.set _ZN12_GLOBAL__N_141elementwise_kernel_with_index_grid_strideIiZZZN2at6native17linspace_cuda_outERKN3c106ScalarES6_lRNS1_6TensorEENKUlvE_clEvENKUlvE1_clEvEUllE_EEvT_T0_PN15function_traitsISD_E11result_typeE.private_seg_size, 0
	.set _ZN12_GLOBAL__N_141elementwise_kernel_with_index_grid_strideIiZZZN2at6native17linspace_cuda_outERKN3c106ScalarES6_lRNS1_6TensorEENKUlvE_clEvENKUlvE1_clEvEUllE_EEvT_T0_PN15function_traitsISD_E11result_typeE.uses_vcc, 1
	.set _ZN12_GLOBAL__N_141elementwise_kernel_with_index_grid_strideIiZZZN2at6native17linspace_cuda_outERKN3c106ScalarES6_lRNS1_6TensorEENKUlvE_clEvENKUlvE1_clEvEUllE_EEvT_T0_PN15function_traitsISD_E11result_typeE.uses_flat_scratch, 0
	.set _ZN12_GLOBAL__N_141elementwise_kernel_with_index_grid_strideIiZZZN2at6native17linspace_cuda_outERKN3c106ScalarES6_lRNS1_6TensorEENKUlvE_clEvENKUlvE1_clEvEUllE_EEvT_T0_PN15function_traitsISD_E11result_typeE.has_dyn_sized_stack, 0
	.set _ZN12_GLOBAL__N_141elementwise_kernel_with_index_grid_strideIiZZZN2at6native17linspace_cuda_outERKN3c106ScalarES6_lRNS1_6TensorEENKUlvE_clEvENKUlvE1_clEvEUllE_EEvT_T0_PN15function_traitsISD_E11result_typeE.has_recursion, 0
	.set _ZN12_GLOBAL__N_141elementwise_kernel_with_index_grid_strideIiZZZN2at6native17linspace_cuda_outERKN3c106ScalarES6_lRNS1_6TensorEENKUlvE_clEvENKUlvE1_clEvEUllE_EEvT_T0_PN15function_traitsISD_E11result_typeE.has_indirect_call, 0
	.section	.AMDGPU.csdata,"",@progbits
; Kernel info:
; codeLenInByte = 872
; TotalNumSgprs: 30
; NumVgprs: 28
; NumAgprs: 0
; TotalNumVgprs: 28
; ScratchSize: 0
; MemoryBound: 0
; FloatMode: 240
; IeeeMode: 1
; LDSByteSize: 0 bytes/workgroup (compile time only)
; SGPRBlocks: 3
; VGPRBlocks: 3
; NumSGPRsForWavesPerEU: 30
; NumVGPRsForWavesPerEU: 28
; AccumOffset: 28
; Occupancy: 8
; WaveLimiterHint : 0
; COMPUTE_PGM_RSRC2:SCRATCH_EN: 0
; COMPUTE_PGM_RSRC2:USER_SGPR: 2
; COMPUTE_PGM_RSRC2:TRAP_HANDLER: 0
; COMPUTE_PGM_RSRC2:TGID_X_EN: 1
; COMPUTE_PGM_RSRC2:TGID_Y_EN: 0
; COMPUTE_PGM_RSRC2:TGID_Z_EN: 0
; COMPUTE_PGM_RSRC2:TIDIG_COMP_CNT: 0
; COMPUTE_PGM_RSRC3_GFX90A:ACCUM_OFFSET: 6
; COMPUTE_PGM_RSRC3_GFX90A:TG_SPLIT: 0
	.section	.text._ZN12_GLOBAL__N_141elementwise_kernel_with_index_grid_strideIlZZZN2at6native17linspace_cuda_outERKN3c106ScalarES6_lRNS1_6TensorEENKUlvE_clEvENKUlvE1_clEvEUllE_EEvT_T0_PN15function_traitsISD_E11result_typeE,"axG",@progbits,_ZN12_GLOBAL__N_141elementwise_kernel_with_index_grid_strideIlZZZN2at6native17linspace_cuda_outERKN3c106ScalarES6_lRNS1_6TensorEENKUlvE_clEvENKUlvE1_clEvEUllE_EEvT_T0_PN15function_traitsISD_E11result_typeE,comdat
	.globl	_ZN12_GLOBAL__N_141elementwise_kernel_with_index_grid_strideIlZZZN2at6native17linspace_cuda_outERKN3c106ScalarES6_lRNS1_6TensorEENKUlvE_clEvENKUlvE1_clEvEUllE_EEvT_T0_PN15function_traitsISD_E11result_typeE ; -- Begin function _ZN12_GLOBAL__N_141elementwise_kernel_with_index_grid_strideIlZZZN2at6native17linspace_cuda_outERKN3c106ScalarES6_lRNS1_6TensorEENKUlvE_clEvENKUlvE1_clEvEUllE_EEvT_T0_PN15function_traitsISD_E11result_typeE
	.p2align	8
	.type	_ZN12_GLOBAL__N_141elementwise_kernel_with_index_grid_strideIlZZZN2at6native17linspace_cuda_outERKN3c106ScalarES6_lRNS1_6TensorEENKUlvE_clEvENKUlvE1_clEvEUllE_EEvT_T0_PN15function_traitsISD_E11result_typeE,@function
_ZN12_GLOBAL__N_141elementwise_kernel_with_index_grid_strideIlZZZN2at6native17linspace_cuda_outERKN3c106ScalarES6_lRNS1_6TensorEENKUlvE_clEvENKUlvE1_clEvEUllE_EEvT_T0_PN15function_traitsISD_E11result_typeE: ; @_ZN12_GLOBAL__N_141elementwise_kernel_with_index_grid_strideIlZZZN2at6native17linspace_cuda_outERKN3c106ScalarES6_lRNS1_6TensorEENKUlvE_clEvENKUlvE1_clEvEUllE_EEvT_T0_PN15function_traitsISD_E11result_typeE
; %bb.0:
	s_load_dword s3, s[0:1], 0x3c
	s_load_dwordx2 s[8:9], s[0:1], 0x0
	s_add_u32 s4, s0, 48
	s_addc_u32 s5, s1, 0
	v_mov_b32_e32 v1, 0
	s_waitcnt lgkmcnt(0)
	s_and_b32 s3, s3, 0xffff
	v_mov_b32_e32 v2, s2
	v_mad_u64_u32 v[2:3], s[6:7], s3, v2, v[0:1]
	v_cmp_gt_i64_e32 vcc, s[8:9], v[2:3]
	s_and_saveexec_b64 s[6:7], vcc
	s_cbranch_execz .LBB5_18
; %bb.1:
	s_load_dword s4, s[4:5], 0x0
	v_mov_b32_e32 v4, s3
	s_mov_b32 s5, 0
	v_mov_b32_e32 v5, s5
	s_load_dwordx2 s[14:15], s[0:1], 0x8
	s_waitcnt lgkmcnt(0)
	s_add_u32 s2, s2, s4
	s_mul_hi_u32 s11, s3, s4
	s_mul_i32 s10, s3, s4
	s_addc_u32 s4, 0, 0
	s_mul_i32 s4, s4, s3
	v_mad_u64_u32 v[6:7], s[2:3], s2, v4, v[0:1]
	v_add_u32_e32 v7, s4, v7
	v_mov_b32_e32 v0, s9
	v_cmp_gt_i64_e32 vcc, s[8:9], v[6:7]
	s_nop 1
	v_cndmask_b32_e32 v8, v7, v0, vcc
	v_mov_b32_e32 v0, s8
	v_cndmask_b32_e64 v4, 0, 1, vcc
	v_cndmask_b32_e32 v0, v6, v0, vcc
	v_lshl_add_u64 v[6:7], v[6:7], 0, v[4:5]
	v_sub_co_u32_e32 v0, vcc, v0, v6
	v_mov_b32_e32 v6, v1
	s_nop 0
	v_subb_co_u32_e32 v8, vcc, v8, v7, vcc
	v_or_b32_e32 v7, s11, v8
	v_cmp_ne_u64_e32 vcc, 0, v[6:7]
                                        ; implicit-def: $vgpr6_vgpr7
	s_and_saveexec_b64 s[2:3], vcc
	s_xor_b64 s[4:5], exec, s[2:3]
	s_cbranch_execz .LBB5_3
; %bb.2:
	v_cvt_f32_u32_e32 v1, s10
	v_cvt_f32_u32_e32 v6, s11
	s_sub_u32 s6, 0, s10
	s_subb_u32 s7, 0, s11
	v_mov_b32_e32 v11, 0
	v_fmamk_f32 v1, v6, 0x4f800000, v1
	v_rcp_f32_e32 v1, v1
	s_nop 0
	v_mul_f32_e32 v1, 0x5f7ffffc, v1
	v_mul_f32_e32 v6, 0x2f800000, v1
	v_trunc_f32_e32 v6, v6
	v_fmamk_f32 v1, v6, 0xcf800000, v1
	v_cvt_u32_f32_e32 v6, v6
	v_cvt_u32_f32_e32 v1, v1
	v_readfirstlane_b32 s12, v6
	v_readfirstlane_b32 s2, v1
	s_mul_i32 s3, s6, s12
	s_mul_hi_u32 s16, s6, s2
	s_mul_i32 s13, s7, s2
	s_add_i32 s3, s16, s3
	s_mul_i32 s17, s6, s2
	s_add_i32 s3, s3, s13
	s_mul_i32 s16, s2, s3
	s_mul_hi_u32 s18, s2, s17
	s_mul_hi_u32 s13, s2, s3
	s_add_u32 s16, s18, s16
	s_addc_u32 s13, 0, s13
	s_mul_hi_u32 s19, s12, s17
	s_mul_i32 s17, s12, s17
	s_add_u32 s16, s16, s17
	s_mul_hi_u32 s18, s12, s3
	s_addc_u32 s13, s13, s19
	s_addc_u32 s16, s18, 0
	s_mul_i32 s3, s12, s3
	s_add_u32 s3, s13, s3
	s_addc_u32 s13, 0, s16
	s_add_u32 s16, s2, s3
	s_cselect_b64 s[2:3], -1, 0
	s_cmp_lg_u64 s[2:3], 0
	s_addc_u32 s12, s12, s13
	s_mul_i32 s2, s6, s12
	s_mul_hi_u32 s3, s6, s16
	s_add_i32 s2, s3, s2
	s_mul_i32 s7, s7, s16
	s_add_i32 s2, s2, s7
	s_mul_i32 s6, s6, s16
	s_mul_hi_u32 s7, s12, s6
	s_mul_i32 s13, s12, s6
	s_mul_i32 s18, s16, s2
	s_mul_hi_u32 s6, s16, s6
	s_mul_hi_u32 s17, s16, s2
	s_add_u32 s6, s6, s18
	s_addc_u32 s17, 0, s17
	s_add_u32 s6, s6, s13
	s_mul_hi_u32 s3, s12, s2
	s_addc_u32 s6, s17, s7
	s_addc_u32 s3, s3, 0
	s_mul_i32 s2, s12, s2
	s_add_u32 s2, s6, s2
	s_addc_u32 s6, 0, s3
	s_add_u32 s7, s16, s2
	s_cselect_b64 s[2:3], -1, 0
	s_cmp_lg_u64 s[2:3], 0
	s_addc_u32 s6, s12, s6
	v_mad_u64_u32 v[6:7], s[2:3], v0, s6, 0
	v_mul_hi_u32 v10, v0, s7
	v_lshl_add_u64 v[6:7], v[10:11], 0, v[6:7]
	v_mad_u64_u32 v[14:15], s[2:3], v8, s7, 0
	v_add_co_u32_e32 v1, vcc, v6, v14
	v_mad_u64_u32 v[12:13], s[2:3], v8, s6, 0
	s_nop 0
	v_addc_co_u32_e32 v10, vcc, v7, v15, vcc
	s_nop 1
	v_addc_co_u32_e32 v13, vcc, 0, v13, vcc
	v_lshl_add_u64 v[6:7], v[10:11], 0, v[12:13]
	v_mul_lo_u32 v1, s11, v6
	v_mul_lo_u32 v9, s10, v7
	v_mad_u64_u32 v[10:11], s[2:3], s10, v6, 0
	v_add3_u32 v9, v11, v9, v1
	v_sub_u32_e32 v1, v8, v9
	v_mov_b32_e32 v11, s11
	v_sub_co_u32_e32 v12, vcc, v0, v10
	s_nop 1
	v_subb_co_u32_e64 v0, s[2:3], v1, v11, vcc
	v_subrev_co_u32_e64 v1, s[2:3], s10, v12
	v_subb_co_u32_e32 v8, vcc, v8, v9, vcc
	s_nop 0
	v_subbrev_co_u32_e64 v0, s[2:3], 0, v0, s[2:3]
	v_cmp_le_u32_e64 s[2:3], s11, v0
	v_cmp_le_u32_e32 vcc, s11, v8
	s_nop 0
	v_cndmask_b32_e64 v10, 0, -1, s[2:3]
	v_cmp_le_u32_e64 s[2:3], s10, v1
	v_cndmask_b32_e64 v9, 0, -1, vcc
	v_cmp_le_u32_e32 vcc, s10, v12
	v_cndmask_b32_e64 v1, 0, -1, s[2:3]
	v_cmp_eq_u32_e64 s[2:3], s11, v0
	s_nop 1
	v_cndmask_b32_e64 v13, v10, v1, s[2:3]
	v_lshl_add_u64 v[0:1], v[6:7], 0, 2
	v_lshl_add_u64 v[10:11], v[6:7], 0, 1
	v_cmp_ne_u32_e64 s[2:3], 0, v13
	s_nop 1
	v_cndmask_b32_e64 v1, v11, v1, s[2:3]
	v_cndmask_b32_e64 v11, 0, -1, vcc
	v_cmp_eq_u32_e32 vcc, s11, v8
	v_cndmask_b32_e64 v0, v10, v0, s[2:3]
	s_nop 0
	v_cndmask_b32_e32 v8, v9, v11, vcc
	v_cmp_ne_u32_e32 vcc, 0, v8
	s_nop 1
	v_cndmask_b32_e32 v7, v7, v1, vcc
	v_cndmask_b32_e32 v6, v6, v0, vcc
                                        ; implicit-def: $vgpr0
.LBB5_3:
	s_or_saveexec_b64 s[2:3], s[4:5]
	s_load_dwordx4 s[4:7], s[0:1], 0x20
	s_xor_b64 exec, exec, s[2:3]
	s_cbranch_execz .LBB5_5
; %bb.4:
	v_cvt_f32_u32_e32 v1, s10
	s_sub_i32 s12, 0, s10
	v_rcp_iflag_f32_e32 v1, v1
	s_nop 0
	v_mul_f32_e32 v1, 0x4f7ffffe, v1
	v_cvt_u32_f32_e32 v1, v1
	v_mul_lo_u32 v6, s12, v1
	v_mul_hi_u32 v6, v1, v6
	v_add_u32_e32 v1, v1, v6
	v_mul_hi_u32 v1, v0, v1
	v_mul_lo_u32 v6, v1, s10
	v_sub_u32_e32 v0, v0, v6
	v_add_u32_e32 v7, 1, v1
	v_subrev_u32_e32 v6, s10, v0
	v_cmp_le_u32_e32 vcc, s10, v0
	s_nop 1
	v_cndmask_b32_e32 v0, v0, v6, vcc
	v_cndmask_b32_e32 v1, v1, v7, vcc
	v_add_u32_e32 v6, 1, v1
	v_cmp_le_u32_e32 vcc, s10, v0
	v_mov_b32_e32 v7, 0
	s_nop 0
	v_cndmask_b32_e32 v6, v1, v6, vcc
.LBB5_5:
	s_or_b64 exec, exec, s[2:3]
	s_load_dwordx2 s[12:13], s[0:1], 0x10
	s_load_dword s2, s[0:1], 0x18
	v_cvt_f32_i32_e32 v0, s15
	v_cvt_f32_i32_e32 v8, s14
	v_lshl_add_u64 v[4:5], v[6:7], 0, v[4:5]
	v_lshl_add_u64 v[10:11], v[4:5], 0, 1
	v_cmp_lt_u64_e32 vcc, 1, v[10:11]
	s_mov_b64 s[0:1], 0
                                        ; implicit-def: $vgpr4_vgpr5
	s_and_saveexec_b64 s[14:15], vcc
	s_xor_b64 s[14:15], exec, s[14:15]
	s_cbranch_execnz .LBB5_8
; %bb.6:
	s_andn2_saveexec_b64 s[14:15], s[14:15]
	s_cbranch_execnz .LBB5_11
.LBB5_7:
	s_or_b64 exec, exec, s[14:15]
	s_and_b64 exec, exec, s[0:1]
	s_cbranch_execnz .LBB5_12
	s_branch .LBB5_18
.LBB5_8:
	v_lshl_add_u64 v[4:5], v[2:3], 0, s[10:11]
	v_and_b32_e32 v12, -2, v10
	v_mov_b32_e32 v13, v11
	s_lshl_b64 s[24:25], s[10:11], 1
	v_mov_b64_e32 v[6:7], v[4:5]
	v_mov_b32_e32 v1, v0
	v_mov_b32_e32 v9, v8
	s_waitcnt lgkmcnt(0)
	s_mov_b32 s16, s4
	s_mov_b32 s17, s5
	;; [unrolled: 1-line block ×9, first 2 shown]
	s_lshl_b64 s[22:23], s[10:11], 2
	v_lshl_add_u64 v[14:15], v[2:3], 2, s[6:7]
	s_lshl_b64 s[30:31], s[10:11], 3
	s_mov_b64 s[28:29], 0
	v_mov_b64_e32 v[16:17], v[12:13]
	v_mov_b64_e32 v[4:5], v[2:3]
.LBB5_9:                                ; =>This Inner Loop Header: Depth=1
	v_not_b32_e32 v19, v7
	v_not_b32_e32 v18, v6
	;; [unrolled: 1-line block ×4, first 2 shown]
	v_ffbh_u32_e32 v24, v7
	v_ffbh_u32_e32 v25, v5
	v_lshl_add_u64 v[20:21], s[12:13], 0, v[20:21]
	v_lshl_add_u64 v[18:19], s[20:21], 0, v[18:19]
	v_min_u32_e32 v26, 32, v24
	v_min_u32_e32 v28, 32, v25
	v_xor_b32_e32 v29, v18, v19
	v_xor_b32_e32 v31, v20, v21
	v_ffbh_i32_e32 v30, v19
	v_ffbh_i32_e32 v32, v21
	v_lshlrev_b64 v[24:25], v26, v[6:7]
	v_sub_u32_e32 v33, 32, v26
	v_lshlrev_b64 v[26:27], v28, v[4:5]
	v_ashrrev_i32_e32 v29, 31, v29
	v_ashrrev_i32_e32 v31, 31, v31
	v_add_u32_e32 v30, -1, v30
	v_add_u32_e32 v32, -1, v32
	v_min_u32_e32 v24, 1, v24
	v_min_u32_e32 v26, 1, v26
	v_add_u32_e32 v29, 32, v29
	v_add_u32_e32 v31, 32, v31
	v_or_b32_e32 v24, v25, v24
	v_or_b32_e32 v25, v27, v26
	v_min_u32_e32 v26, v30, v29
	v_min_u32_e32 v27, v32, v31
	v_lshlrev_b64 v[18:19], v26, v[18:19]
	v_lshlrev_b64 v[20:21], v27, v[20:21]
	v_min_u32_e32 v18, 1, v18
	v_min_u32_e32 v20, 1, v20
	v_or_b32_e32 v18, v19, v18
	v_or_b32_e32 v19, v21, v20
	v_cvt_f32_u32_e32 v24, v24
	v_cvt_f32_u32_e32 v25, v25
	v_cvt_f32_i32_e32 v20, v18
	v_cvt_f32_i32_e32 v29, v19
	v_sub_u32_e32 v28, 32, v28
	v_sub_u32_e32 v26, 32, v26
	;; [unrolled: 1-line block ×3, first 2 shown]
	v_lshl_add_u64 v[16:17], v[16:17], 0, -2
	v_ldexp_f32 v19, v24, v33
	v_ldexp_f32 v18, v25, v28
	;; [unrolled: 1-line block ×4, first 2 shown]
	v_cmp_eq_u64_e32 vcc, 0, v[16:17]
	v_pk_fma_f32 v[18:19], s[2:3], v[18:19], v[8:9]
	v_pk_fma_f32 v[20:21], s[2:3], v[20:21], v[0:1] neg_lo:[1,0,0] neg_hi:[1,0,0]
	v_cmp_gt_i64_e64 s[0:1], s[16:17], v[4:5]
	s_or_b64 s[28:29], vcc, s[28:29]
	v_cmp_gt_i64_e32 vcc, s[18:19], v[6:7]
	v_cndmask_b32_e64 v18, v20, v18, s[0:1]
	v_cvt_i32_f32_e32 v18, v18
	v_cndmask_b32_e32 v19, v21, v19, vcc
	v_cvt_i32_f32_e32 v19, v19
	v_lshl_add_u64 v[22:23], v[14:15], 0, s[22:23]
	v_lshl_add_u64 v[6:7], v[6:7], 0, s[26:27]
	;; [unrolled: 1-line block ×3, first 2 shown]
	global_store_dword v[14:15], v18, off
	global_store_dword v[22:23], v19, off
	v_lshl_add_u64 v[14:15], v[14:15], 0, s[30:31]
	s_andn2_b64 exec, exec, s[28:29]
	s_cbranch_execnz .LBB5_9
; %bb.10:
	s_or_b64 exec, exec, s[28:29]
	v_mad_u64_u32 v[2:3], s[0:1], v12, s10, v[2:3]
	v_mul_lo_u32 v1, v12, s11
	v_mul_lo_u32 v4, v13, s10
	v_cmp_ne_u64_e32 vcc, v[10:11], v[12:13]
	v_add3_u32 v3, v4, v3, v1
	v_mov_b64_e32 v[4:5], s[22:23]
	s_and_b64 s[0:1], vcc, exec
	s_andn2_saveexec_b64 s[14:15], s[14:15]
	s_cbranch_execz .LBB5_7
.LBB5_11:
	s_lshl_b64 s[16:17], s[10:11], 2
	v_mov_b64_e32 v[4:5], s[16:17]
	s_or_b64 s[0:1], s[0:1], exec
	s_or_b64 exec, exec, s[14:15]
	s_and_b64 exec, exec, s[0:1]
	s_cbranch_execz .LBB5_18
.LBB5_12:
	v_not_b32_e32 v7, v3
	v_not_b32_e32 v6, v2
	s_waitcnt lgkmcnt(0)
	v_lshl_add_u64 v[6:7], v[6:7], 0, s[12:13]
	v_lshl_add_u64 v[10:11], v[2:3], 2, s[6:7]
	s_mov_b64 s[0:1], 0
	v_mov_b32_e32 v1, s11
	s_branch .LBB5_14
.LBB5_13:                               ;   in Loop: Header=BB5_14 Depth=1
	s_or_b64 exec, exec, s[6:7]
	v_cvt_i32_f32_e32 v9, v9
	v_subrev_co_u32_e32 v6, vcc, s10, v6
	v_lshl_add_u64 v[2:3], v[2:3], 0, s[10:11]
	s_nop 0
	v_subb_co_u32_e32 v7, vcc, v7, v1, vcc
	v_cmp_le_i64_e32 vcc, s[8:9], v[2:3]
	global_store_dword v[10:11], v9, off
	s_or_b64 s[0:1], vcc, s[0:1]
	v_lshl_add_u64 v[10:11], v[10:11], 0, v[4:5]
	s_andn2_b64 exec, exec, s[0:1]
	s_cbranch_execz .LBB5_18
.LBB5_14:                               ; =>This Inner Loop Header: Depth=1
	v_cmp_le_i64_e32 vcc, s[4:5], v[2:3]
                                        ; implicit-def: $vgpr9
	s_and_saveexec_b64 s[6:7], vcc
	s_xor_b64 s[6:7], exec, s[6:7]
	s_cbranch_execz .LBB5_16
; %bb.15:                               ;   in Loop: Header=BB5_14 Depth=1
	v_xor_b32_e32 v12, v6, v7
	v_ffbh_i32_e32 v9, v7
	v_ashrrev_i32_e32 v12, 31, v12
	v_add_u32_e32 v9, -1, v9
	v_add_u32_e32 v12, 32, v12
	v_min_u32_e32 v9, v9, v12
	v_lshlrev_b64 v[12:13], v9, v[6:7]
	v_min_u32_e32 v12, 1, v12
	v_or_b32_e32 v12, v13, v12
	v_cvt_f32_i32_e32 v12, v12
	v_sub_u32_e32 v9, 32, v9
	v_ldexp_f32 v9, v12, v9
	v_fma_f32 v9, -s2, v9, v0
.LBB5_16:                               ;   in Loop: Header=BB5_14 Depth=1
	s_andn2_saveexec_b64 s[6:7], s[6:7]
	s_cbranch_execz .LBB5_13
; %bb.17:                               ;   in Loop: Header=BB5_14 Depth=1
	v_ffbh_u32_e32 v9, v3
	v_min_u32_e32 v9, 32, v9
	v_lshlrev_b64 v[12:13], v9, v[2:3]
	v_min_u32_e32 v12, 1, v12
	v_or_b32_e32 v12, v13, v12
	v_cvt_f32_u32_e32 v12, v12
	v_sub_u32_e32 v9, 32, v9
	v_ldexp_f32 v9, v12, v9
	v_fma_f32 v9, s2, v9, v8
	s_branch .LBB5_13
.LBB5_18:
	s_endpgm
	.section	.rodata,"a",@progbits
	.p2align	6, 0x0
	.amdhsa_kernel _ZN12_GLOBAL__N_141elementwise_kernel_with_index_grid_strideIlZZZN2at6native17linspace_cuda_outERKN3c106ScalarES6_lRNS1_6TensorEENKUlvE_clEvENKUlvE1_clEvEUllE_EEvT_T0_PN15function_traitsISD_E11result_typeE
		.amdhsa_group_segment_fixed_size 0
		.amdhsa_private_segment_fixed_size 0
		.amdhsa_kernarg_size 304
		.amdhsa_user_sgpr_count 2
		.amdhsa_user_sgpr_dispatch_ptr 0
		.amdhsa_user_sgpr_queue_ptr 0
		.amdhsa_user_sgpr_kernarg_segment_ptr 1
		.amdhsa_user_sgpr_dispatch_id 0
		.amdhsa_user_sgpr_kernarg_preload_length 0
		.amdhsa_user_sgpr_kernarg_preload_offset 0
		.amdhsa_user_sgpr_private_segment_size 0
		.amdhsa_uses_dynamic_stack 0
		.amdhsa_enable_private_segment 0
		.amdhsa_system_sgpr_workgroup_id_x 1
		.amdhsa_system_sgpr_workgroup_id_y 0
		.amdhsa_system_sgpr_workgroup_id_z 0
		.amdhsa_system_sgpr_workgroup_info 0
		.amdhsa_system_vgpr_workitem_id 0
		.amdhsa_next_free_vgpr 34
		.amdhsa_next_free_sgpr 32
		.amdhsa_accum_offset 36
		.amdhsa_reserve_vcc 1
		.amdhsa_float_round_mode_32 0
		.amdhsa_float_round_mode_16_64 0
		.amdhsa_float_denorm_mode_32 3
		.amdhsa_float_denorm_mode_16_64 3
		.amdhsa_dx10_clamp 1
		.amdhsa_ieee_mode 1
		.amdhsa_fp16_overflow 0
		.amdhsa_tg_split 0
		.amdhsa_exception_fp_ieee_invalid_op 0
		.amdhsa_exception_fp_denorm_src 0
		.amdhsa_exception_fp_ieee_div_zero 0
		.amdhsa_exception_fp_ieee_overflow 0
		.amdhsa_exception_fp_ieee_underflow 0
		.amdhsa_exception_fp_ieee_inexact 0
		.amdhsa_exception_int_div_zero 0
	.end_amdhsa_kernel
	.section	.text._ZN12_GLOBAL__N_141elementwise_kernel_with_index_grid_strideIlZZZN2at6native17linspace_cuda_outERKN3c106ScalarES6_lRNS1_6TensorEENKUlvE_clEvENKUlvE1_clEvEUllE_EEvT_T0_PN15function_traitsISD_E11result_typeE,"axG",@progbits,_ZN12_GLOBAL__N_141elementwise_kernel_with_index_grid_strideIlZZZN2at6native17linspace_cuda_outERKN3c106ScalarES6_lRNS1_6TensorEENKUlvE_clEvENKUlvE1_clEvEUllE_EEvT_T0_PN15function_traitsISD_E11result_typeE,comdat
.Lfunc_end5:
	.size	_ZN12_GLOBAL__N_141elementwise_kernel_with_index_grid_strideIlZZZN2at6native17linspace_cuda_outERKN3c106ScalarES6_lRNS1_6TensorEENKUlvE_clEvENKUlvE1_clEvEUllE_EEvT_T0_PN15function_traitsISD_E11result_typeE, .Lfunc_end5-_ZN12_GLOBAL__N_141elementwise_kernel_with_index_grid_strideIlZZZN2at6native17linspace_cuda_outERKN3c106ScalarES6_lRNS1_6TensorEENKUlvE_clEvENKUlvE1_clEvEUllE_EEvT_T0_PN15function_traitsISD_E11result_typeE
                                        ; -- End function
	.set _ZN12_GLOBAL__N_141elementwise_kernel_with_index_grid_strideIlZZZN2at6native17linspace_cuda_outERKN3c106ScalarES6_lRNS1_6TensorEENKUlvE_clEvENKUlvE1_clEvEUllE_EEvT_T0_PN15function_traitsISD_E11result_typeE.num_vgpr, 34
	.set _ZN12_GLOBAL__N_141elementwise_kernel_with_index_grid_strideIlZZZN2at6native17linspace_cuda_outERKN3c106ScalarES6_lRNS1_6TensorEENKUlvE_clEvENKUlvE1_clEvEUllE_EEvT_T0_PN15function_traitsISD_E11result_typeE.num_agpr, 0
	.set _ZN12_GLOBAL__N_141elementwise_kernel_with_index_grid_strideIlZZZN2at6native17linspace_cuda_outERKN3c106ScalarES6_lRNS1_6TensorEENKUlvE_clEvENKUlvE1_clEvEUllE_EEvT_T0_PN15function_traitsISD_E11result_typeE.numbered_sgpr, 32
	.set _ZN12_GLOBAL__N_141elementwise_kernel_with_index_grid_strideIlZZZN2at6native17linspace_cuda_outERKN3c106ScalarES6_lRNS1_6TensorEENKUlvE_clEvENKUlvE1_clEvEUllE_EEvT_T0_PN15function_traitsISD_E11result_typeE.num_named_barrier, 0
	.set _ZN12_GLOBAL__N_141elementwise_kernel_with_index_grid_strideIlZZZN2at6native17linspace_cuda_outERKN3c106ScalarES6_lRNS1_6TensorEENKUlvE_clEvENKUlvE1_clEvEUllE_EEvT_T0_PN15function_traitsISD_E11result_typeE.private_seg_size, 0
	.set _ZN12_GLOBAL__N_141elementwise_kernel_with_index_grid_strideIlZZZN2at6native17linspace_cuda_outERKN3c106ScalarES6_lRNS1_6TensorEENKUlvE_clEvENKUlvE1_clEvEUllE_EEvT_T0_PN15function_traitsISD_E11result_typeE.uses_vcc, 1
	.set _ZN12_GLOBAL__N_141elementwise_kernel_with_index_grid_strideIlZZZN2at6native17linspace_cuda_outERKN3c106ScalarES6_lRNS1_6TensorEENKUlvE_clEvENKUlvE1_clEvEUllE_EEvT_T0_PN15function_traitsISD_E11result_typeE.uses_flat_scratch, 0
	.set _ZN12_GLOBAL__N_141elementwise_kernel_with_index_grid_strideIlZZZN2at6native17linspace_cuda_outERKN3c106ScalarES6_lRNS1_6TensorEENKUlvE_clEvENKUlvE1_clEvEUllE_EEvT_T0_PN15function_traitsISD_E11result_typeE.has_dyn_sized_stack, 0
	.set _ZN12_GLOBAL__N_141elementwise_kernel_with_index_grid_strideIlZZZN2at6native17linspace_cuda_outERKN3c106ScalarES6_lRNS1_6TensorEENKUlvE_clEvENKUlvE1_clEvEUllE_EEvT_T0_PN15function_traitsISD_E11result_typeE.has_recursion, 0
	.set _ZN12_GLOBAL__N_141elementwise_kernel_with_index_grid_strideIlZZZN2at6native17linspace_cuda_outERKN3c106ScalarES6_lRNS1_6TensorEENKUlvE_clEvENKUlvE1_clEvEUllE_EEvT_T0_PN15function_traitsISD_E11result_typeE.has_indirect_call, 0
	.section	.AMDGPU.csdata,"",@progbits
; Kernel info:
; codeLenInByte = 1764
; TotalNumSgprs: 38
; NumVgprs: 34
; NumAgprs: 0
; TotalNumVgprs: 34
; ScratchSize: 0
; MemoryBound: 0
; FloatMode: 240
; IeeeMode: 1
; LDSByteSize: 0 bytes/workgroup (compile time only)
; SGPRBlocks: 4
; VGPRBlocks: 4
; NumSGPRsForWavesPerEU: 38
; NumVGPRsForWavesPerEU: 34
; AccumOffset: 36
; Occupancy: 8
; WaveLimiterHint : 0
; COMPUTE_PGM_RSRC2:SCRATCH_EN: 0
; COMPUTE_PGM_RSRC2:USER_SGPR: 2
; COMPUTE_PGM_RSRC2:TRAP_HANDLER: 0
; COMPUTE_PGM_RSRC2:TGID_X_EN: 1
; COMPUTE_PGM_RSRC2:TGID_Y_EN: 0
; COMPUTE_PGM_RSRC2:TGID_Z_EN: 0
; COMPUTE_PGM_RSRC2:TIDIG_COMP_CNT: 0
; COMPUTE_PGM_RSRC3_GFX90A:ACCUM_OFFSET: 8
; COMPUTE_PGM_RSRC3_GFX90A:TG_SPLIT: 0
	.section	.text._ZN12_GLOBAL__N_141elementwise_kernel_with_index_grid_strideIiZZZN2at6native17linspace_cuda_outERKN3c106ScalarES6_lRNS1_6TensorEENKUlvE_clEvENKUlvE2_clEvEUllE_EEvT_T0_PN15function_traitsISD_E11result_typeE,"axG",@progbits,_ZN12_GLOBAL__N_141elementwise_kernel_with_index_grid_strideIiZZZN2at6native17linspace_cuda_outERKN3c106ScalarES6_lRNS1_6TensorEENKUlvE_clEvENKUlvE2_clEvEUllE_EEvT_T0_PN15function_traitsISD_E11result_typeE,comdat
	.globl	_ZN12_GLOBAL__N_141elementwise_kernel_with_index_grid_strideIiZZZN2at6native17linspace_cuda_outERKN3c106ScalarES6_lRNS1_6TensorEENKUlvE_clEvENKUlvE2_clEvEUllE_EEvT_T0_PN15function_traitsISD_E11result_typeE ; -- Begin function _ZN12_GLOBAL__N_141elementwise_kernel_with_index_grid_strideIiZZZN2at6native17linspace_cuda_outERKN3c106ScalarES6_lRNS1_6TensorEENKUlvE_clEvENKUlvE2_clEvEUllE_EEvT_T0_PN15function_traitsISD_E11result_typeE
	.p2align	8
	.type	_ZN12_GLOBAL__N_141elementwise_kernel_with_index_grid_strideIiZZZN2at6native17linspace_cuda_outERKN3c106ScalarES6_lRNS1_6TensorEENKUlvE_clEvENKUlvE2_clEvEUllE_EEvT_T0_PN15function_traitsISD_E11result_typeE,@function
_ZN12_GLOBAL__N_141elementwise_kernel_with_index_grid_strideIiZZZN2at6native17linspace_cuda_outERKN3c106ScalarES6_lRNS1_6TensorEENKUlvE_clEvENKUlvE2_clEvEUllE_EEvT_T0_PN15function_traitsISD_E11result_typeE: ; @_ZN12_GLOBAL__N_141elementwise_kernel_with_index_grid_strideIiZZZN2at6native17linspace_cuda_outERKN3c106ScalarES6_lRNS1_6TensorEENKUlvE_clEvENKUlvE2_clEvEUllE_EEvT_T0_PN15function_traitsISD_E11result_typeE
; %bb.0:
	s_load_dword s3, s[0:1], 0x44
	s_load_dword s10, s[0:1], 0x0
	s_add_u32 s8, s0, 56
	s_addc_u32 s9, s1, 0
	s_waitcnt lgkmcnt(0)
	s_and_b32 s3, s3, 0xffff
	s_mul_i32 s2, s2, s3
	v_add_u32_e32 v0, s2, v0
	v_cmp_gt_i32_e32 vcc, s10, v0
	s_and_saveexec_b64 s[4:5], vcc
	s_cbranch_execz .LBB6_7
; %bb.1:
	s_load_dwordx4 s[4:7], s[0:1], 0x28
	s_load_dword s11, s[0:1], 0x20
	s_load_dword s2, s[8:9], 0x0
	s_load_dwordx4 s[12:15], s[0:1], 0x8
	s_load_dwordx2 s[16:17], s[0:1], 0x18
	s_waitcnt lgkmcnt(0)
	v_mov_b32_e32 v4, s6
	v_mov_b32_e32 v5, s7
	s_mul_i32 s0, s2, s3
	s_xor_b32 s2, s14, s15
	s_flbit_i32 s1, s15
	s_ashr_i32 s2, s2, 31
	s_add_i32 s1, s1, -1
	s_add_i32 s2, s2, 32
	s_min_u32 s1, s1, s2
	s_lshl_b64 s[2:3], s[14:15], s1
	s_min_u32 s2, s2, 1
	s_or_b32 s2, s3, s2
	s_xor_b32 s3, s12, s13
	v_cvt_f32_i32_e32 v1, s2
	s_flbit_i32 s2, s13
	s_ashr_i32 s3, s3, 31
	s_add_i32 s2, s2, -1
	s_add_i32 s3, s3, 32
	s_min_u32 s6, s2, s3
	s_lshl_b64 s[2:3], s[12:13], s6
	s_min_u32 s2, s2, 1
	s_or_b32 s2, s3, s2
	v_cvt_f32_i32_e32 v2, s2
	s_sub_i32 s1, 32, s1
	v_ldexp_f32 v6, v1, s1
	s_sub_i32 s1, 32, s6
	v_ashrrev_i32_e32 v1, 31, v0
	v_ldexp_f32 v7, v2, s1
	v_not_b32_e32 v3, v1
	v_not_b32_e32 v2, v0
	s_ashr_i32 s1, s0, 31
	v_lshl_add_u64 v[2:3], v[2:3], 0, s[16:17]
	v_lshl_add_u64 v[4:5], v[0:1], 3, v[4:5]
	s_lshl_b64 s[2:3], s[0:1], 3
	s_mov_b64 s[6:7], 0
	s_mov_b32 s12, 0x2f800000
	s_mov_b32 s13, 0xcf800000
	v_mov_b32_e32 v8, s1
	s_branch .LBB6_3
.LBB6_2:                                ;   in Loop: Header=BB6_3 Depth=1
	s_or_b64 exec, exec, s[8:9]
	v_trunc_f32_e32 v9, v9
	v_mul_f32_e64 v10, |v9|, s12
	v_floor_f32_e32 v10, v10
	v_cvt_u32_f32_e32 v11, v10
	v_fma_f32 v10, v10, s13, |v9|
	v_cvt_u32_f32_e32 v10, v10
	v_ashrrev_i32_e32 v9, 31, v9
	v_xor_b32_e32 v11, v11, v9
	v_lshl_add_u64 v[0:1], v[0:1], 0, s[0:1]
	v_xor_b32_e32 v10, v10, v9
	v_sub_co_u32_e32 v10, vcc, v10, v9
	s_nop 1
	v_subb_co_u32_e32 v11, vcc, v11, v9, vcc
	v_subrev_co_u32_e32 v2, vcc, s0, v2
	global_store_dwordx2 v[4:5], v[10:11], off
	s_nop 0
	v_subb_co_u32_e32 v3, vcc, v3, v8, vcc
	v_cmp_le_i32_e32 vcc, s10, v0
	s_or_b64 s[6:7], vcc, s[6:7]
	v_lshl_add_u64 v[4:5], v[4:5], 0, s[2:3]
	s_andn2_b64 exec, exec, s[6:7]
	s_cbranch_execz .LBB6_7
.LBB6_3:                                ; =>This Inner Loop Header: Depth=1
	v_cmp_le_i64_e32 vcc, s[4:5], v[0:1]
                                        ; implicit-def: $vgpr9
	s_and_saveexec_b64 s[8:9], vcc
	s_xor_b64 s[8:9], exec, s[8:9]
	s_cbranch_execz .LBB6_5
; %bb.4:                                ;   in Loop: Header=BB6_3 Depth=1
	v_xor_b32_e32 v10, v2, v3
	v_ffbh_i32_e32 v9, v3
	v_ashrrev_i32_e32 v10, 31, v10
	v_add_u32_e32 v9, -1, v9
	v_add_u32_e32 v10, 32, v10
	v_min_u32_e32 v9, v9, v10
	v_lshlrev_b64 v[10:11], v9, v[2:3]
	v_min_u32_e32 v10, 1, v10
	v_or_b32_e32 v10, v11, v10
	v_cvt_f32_i32_e32 v10, v10
	v_sub_u32_e32 v9, 32, v9
	v_ldexp_f32 v9, v10, v9
	v_fma_f32 v9, -s11, v9, v6
.LBB6_5:                                ;   in Loop: Header=BB6_3 Depth=1
	s_andn2_saveexec_b64 s[8:9], s[8:9]
	s_cbranch_execz .LBB6_2
; %bb.6:                                ;   in Loop: Header=BB6_3 Depth=1
	v_cvt_f32_i32_e32 v9, v0
	v_fma_f32 v9, s11, v9, v7
	s_branch .LBB6_2
.LBB6_7:
	s_endpgm
	.section	.rodata,"a",@progbits
	.p2align	6, 0x0
	.amdhsa_kernel _ZN12_GLOBAL__N_141elementwise_kernel_with_index_grid_strideIiZZZN2at6native17linspace_cuda_outERKN3c106ScalarES6_lRNS1_6TensorEENKUlvE_clEvENKUlvE2_clEvEUllE_EEvT_T0_PN15function_traitsISD_E11result_typeE
		.amdhsa_group_segment_fixed_size 0
		.amdhsa_private_segment_fixed_size 0
		.amdhsa_kernarg_size 312
		.amdhsa_user_sgpr_count 2
		.amdhsa_user_sgpr_dispatch_ptr 0
		.amdhsa_user_sgpr_queue_ptr 0
		.amdhsa_user_sgpr_kernarg_segment_ptr 1
		.amdhsa_user_sgpr_dispatch_id 0
		.amdhsa_user_sgpr_kernarg_preload_length 0
		.amdhsa_user_sgpr_kernarg_preload_offset 0
		.amdhsa_user_sgpr_private_segment_size 0
		.amdhsa_uses_dynamic_stack 0
		.amdhsa_enable_private_segment 0
		.amdhsa_system_sgpr_workgroup_id_x 1
		.amdhsa_system_sgpr_workgroup_id_y 0
		.amdhsa_system_sgpr_workgroup_id_z 0
		.amdhsa_system_sgpr_workgroup_info 0
		.amdhsa_system_vgpr_workitem_id 0
		.amdhsa_next_free_vgpr 12
		.amdhsa_next_free_sgpr 18
		.amdhsa_accum_offset 12
		.amdhsa_reserve_vcc 1
		.amdhsa_float_round_mode_32 0
		.amdhsa_float_round_mode_16_64 0
		.amdhsa_float_denorm_mode_32 3
		.amdhsa_float_denorm_mode_16_64 3
		.amdhsa_dx10_clamp 1
		.amdhsa_ieee_mode 1
		.amdhsa_fp16_overflow 0
		.amdhsa_tg_split 0
		.amdhsa_exception_fp_ieee_invalid_op 0
		.amdhsa_exception_fp_denorm_src 0
		.amdhsa_exception_fp_ieee_div_zero 0
		.amdhsa_exception_fp_ieee_overflow 0
		.amdhsa_exception_fp_ieee_underflow 0
		.amdhsa_exception_fp_ieee_inexact 0
		.amdhsa_exception_int_div_zero 0
	.end_amdhsa_kernel
	.section	.text._ZN12_GLOBAL__N_141elementwise_kernel_with_index_grid_strideIiZZZN2at6native17linspace_cuda_outERKN3c106ScalarES6_lRNS1_6TensorEENKUlvE_clEvENKUlvE2_clEvEUllE_EEvT_T0_PN15function_traitsISD_E11result_typeE,"axG",@progbits,_ZN12_GLOBAL__N_141elementwise_kernel_with_index_grid_strideIiZZZN2at6native17linspace_cuda_outERKN3c106ScalarES6_lRNS1_6TensorEENKUlvE_clEvENKUlvE2_clEvEUllE_EEvT_T0_PN15function_traitsISD_E11result_typeE,comdat
.Lfunc_end6:
	.size	_ZN12_GLOBAL__N_141elementwise_kernel_with_index_grid_strideIiZZZN2at6native17linspace_cuda_outERKN3c106ScalarES6_lRNS1_6TensorEENKUlvE_clEvENKUlvE2_clEvEUllE_EEvT_T0_PN15function_traitsISD_E11result_typeE, .Lfunc_end6-_ZN12_GLOBAL__N_141elementwise_kernel_with_index_grid_strideIiZZZN2at6native17linspace_cuda_outERKN3c106ScalarES6_lRNS1_6TensorEENKUlvE_clEvENKUlvE2_clEvEUllE_EEvT_T0_PN15function_traitsISD_E11result_typeE
                                        ; -- End function
	.set _ZN12_GLOBAL__N_141elementwise_kernel_with_index_grid_strideIiZZZN2at6native17linspace_cuda_outERKN3c106ScalarES6_lRNS1_6TensorEENKUlvE_clEvENKUlvE2_clEvEUllE_EEvT_T0_PN15function_traitsISD_E11result_typeE.num_vgpr, 12
	.set _ZN12_GLOBAL__N_141elementwise_kernel_with_index_grid_strideIiZZZN2at6native17linspace_cuda_outERKN3c106ScalarES6_lRNS1_6TensorEENKUlvE_clEvENKUlvE2_clEvEUllE_EEvT_T0_PN15function_traitsISD_E11result_typeE.num_agpr, 0
	.set _ZN12_GLOBAL__N_141elementwise_kernel_with_index_grid_strideIiZZZN2at6native17linspace_cuda_outERKN3c106ScalarES6_lRNS1_6TensorEENKUlvE_clEvENKUlvE2_clEvEUllE_EEvT_T0_PN15function_traitsISD_E11result_typeE.numbered_sgpr, 18
	.set _ZN12_GLOBAL__N_141elementwise_kernel_with_index_grid_strideIiZZZN2at6native17linspace_cuda_outERKN3c106ScalarES6_lRNS1_6TensorEENKUlvE_clEvENKUlvE2_clEvEUllE_EEvT_T0_PN15function_traitsISD_E11result_typeE.num_named_barrier, 0
	.set _ZN12_GLOBAL__N_141elementwise_kernel_with_index_grid_strideIiZZZN2at6native17linspace_cuda_outERKN3c106ScalarES6_lRNS1_6TensorEENKUlvE_clEvENKUlvE2_clEvEUllE_EEvT_T0_PN15function_traitsISD_E11result_typeE.private_seg_size, 0
	.set _ZN12_GLOBAL__N_141elementwise_kernel_with_index_grid_strideIiZZZN2at6native17linspace_cuda_outERKN3c106ScalarES6_lRNS1_6TensorEENKUlvE_clEvENKUlvE2_clEvEUllE_EEvT_T0_PN15function_traitsISD_E11result_typeE.uses_vcc, 1
	.set _ZN12_GLOBAL__N_141elementwise_kernel_with_index_grid_strideIiZZZN2at6native17linspace_cuda_outERKN3c106ScalarES6_lRNS1_6TensorEENKUlvE_clEvENKUlvE2_clEvEUllE_EEvT_T0_PN15function_traitsISD_E11result_typeE.uses_flat_scratch, 0
	.set _ZN12_GLOBAL__N_141elementwise_kernel_with_index_grid_strideIiZZZN2at6native17linspace_cuda_outERKN3c106ScalarES6_lRNS1_6TensorEENKUlvE_clEvENKUlvE2_clEvEUllE_EEvT_T0_PN15function_traitsISD_E11result_typeE.has_dyn_sized_stack, 0
	.set _ZN12_GLOBAL__N_141elementwise_kernel_with_index_grid_strideIiZZZN2at6native17linspace_cuda_outERKN3c106ScalarES6_lRNS1_6TensorEENKUlvE_clEvENKUlvE2_clEvEUllE_EEvT_T0_PN15function_traitsISD_E11result_typeE.has_recursion, 0
	.set _ZN12_GLOBAL__N_141elementwise_kernel_with_index_grid_strideIiZZZN2at6native17linspace_cuda_outERKN3c106ScalarES6_lRNS1_6TensorEENKUlvE_clEvENKUlvE2_clEvEUllE_EEvT_T0_PN15function_traitsISD_E11result_typeE.has_indirect_call, 0
	.section	.AMDGPU.csdata,"",@progbits
; Kernel info:
; codeLenInByte = 500
; TotalNumSgprs: 24
; NumVgprs: 12
; NumAgprs: 0
; TotalNumVgprs: 12
; ScratchSize: 0
; MemoryBound: 0
; FloatMode: 240
; IeeeMode: 1
; LDSByteSize: 0 bytes/workgroup (compile time only)
; SGPRBlocks: 2
; VGPRBlocks: 1
; NumSGPRsForWavesPerEU: 24
; NumVGPRsForWavesPerEU: 12
; AccumOffset: 12
; Occupancy: 8
; WaveLimiterHint : 0
; COMPUTE_PGM_RSRC2:SCRATCH_EN: 0
; COMPUTE_PGM_RSRC2:USER_SGPR: 2
; COMPUTE_PGM_RSRC2:TRAP_HANDLER: 0
; COMPUTE_PGM_RSRC2:TGID_X_EN: 1
; COMPUTE_PGM_RSRC2:TGID_Y_EN: 0
; COMPUTE_PGM_RSRC2:TGID_Z_EN: 0
; COMPUTE_PGM_RSRC2:TIDIG_COMP_CNT: 0
; COMPUTE_PGM_RSRC3_GFX90A:ACCUM_OFFSET: 2
; COMPUTE_PGM_RSRC3_GFX90A:TG_SPLIT: 0
	.section	.text._ZN12_GLOBAL__N_141elementwise_kernel_with_index_grid_strideIlZZZN2at6native17linspace_cuda_outERKN3c106ScalarES6_lRNS1_6TensorEENKUlvE_clEvENKUlvE2_clEvEUllE_EEvT_T0_PN15function_traitsISD_E11result_typeE,"axG",@progbits,_ZN12_GLOBAL__N_141elementwise_kernel_with_index_grid_strideIlZZZN2at6native17linspace_cuda_outERKN3c106ScalarES6_lRNS1_6TensorEENKUlvE_clEvENKUlvE2_clEvEUllE_EEvT_T0_PN15function_traitsISD_E11result_typeE,comdat
	.globl	_ZN12_GLOBAL__N_141elementwise_kernel_with_index_grid_strideIlZZZN2at6native17linspace_cuda_outERKN3c106ScalarES6_lRNS1_6TensorEENKUlvE_clEvENKUlvE2_clEvEUllE_EEvT_T0_PN15function_traitsISD_E11result_typeE ; -- Begin function _ZN12_GLOBAL__N_141elementwise_kernel_with_index_grid_strideIlZZZN2at6native17linspace_cuda_outERKN3c106ScalarES6_lRNS1_6TensorEENKUlvE_clEvENKUlvE2_clEvEUllE_EEvT_T0_PN15function_traitsISD_E11result_typeE
	.p2align	8
	.type	_ZN12_GLOBAL__N_141elementwise_kernel_with_index_grid_strideIlZZZN2at6native17linspace_cuda_outERKN3c106ScalarES6_lRNS1_6TensorEENKUlvE_clEvENKUlvE2_clEvEUllE_EEvT_T0_PN15function_traitsISD_E11result_typeE,@function
_ZN12_GLOBAL__N_141elementwise_kernel_with_index_grid_strideIlZZZN2at6native17linspace_cuda_outERKN3c106ScalarES6_lRNS1_6TensorEENKUlvE_clEvENKUlvE2_clEvEUllE_EEvT_T0_PN15function_traitsISD_E11result_typeE: ; @_ZN12_GLOBAL__N_141elementwise_kernel_with_index_grid_strideIlZZZN2at6native17linspace_cuda_outERKN3c106ScalarES6_lRNS1_6TensorEENKUlvE_clEvENKUlvE2_clEvEUllE_EEvT_T0_PN15function_traitsISD_E11result_typeE
; %bb.0:
	s_load_dword s3, s[0:1], 0x44
	s_load_dwordx2 s[8:9], s[0:1], 0x0
	s_add_u32 s10, s0, 56
	s_addc_u32 s11, s1, 0
	v_mov_b32_e32 v1, 0
	s_waitcnt lgkmcnt(0)
	s_and_b32 s3, s3, 0xffff
	v_mov_b32_e32 v2, s2
	v_mad_u64_u32 v[0:1], s[4:5], s3, v2, v[0:1]
	v_cmp_gt_i64_e32 vcc, s[8:9], v[0:1]
	s_and_saveexec_b64 s[4:5], vcc
	s_cbranch_execz .LBB7_7
; %bb.1:
	s_load_dwordx4 s[4:7], s[0:1], 0x28
	s_load_dword s12, s[0:1], 0x20
	s_load_dword s2, s[10:11], 0x0
	s_load_dwordx4 s[16:19], s[0:1], 0x8
	s_load_dwordx2 s[14:15], s[0:1], 0x18
	s_waitcnt lgkmcnt(0)
	v_mov_b32_e32 v4, s6
	v_mov_b32_e32 v5, s7
	s_mul_hi_u32 s1, s3, s2
	s_mul_i32 s0, s3, s2
	s_xor_b32 s3, s18, s19
	s_flbit_i32 s2, s19
	s_ashr_i32 s3, s3, 31
	s_add_i32 s2, s2, -1
	s_add_i32 s3, s3, 32
	s_min_u32 s6, s2, s3
	s_lshl_b64 s[2:3], s[18:19], s6
	s_min_u32 s2, s2, 1
	s_or_b32 s2, s3, s2
	s_xor_b32 s3, s16, s17
	v_cvt_f32_i32_e32 v2, s2
	s_flbit_i32 s2, s17
	s_ashr_i32 s3, s3, 31
	s_add_i32 s2, s2, -1
	s_add_i32 s3, s3, 32
	s_min_u32 s7, s2, s3
	s_lshl_b64 s[2:3], s[16:17], s7
	s_min_u32 s2, s2, 1
	s_or_b32 s2, s3, s2
	v_cvt_f32_i32_e32 v3, s2
	s_sub_i32 s2, 32, s6
	v_ldexp_f32 v6, v2, s2
	s_sub_i32 s2, 32, s7
	v_ldexp_f32 v7, v3, s2
	v_not_b32_e32 v3, v1
	v_not_b32_e32 v2, v0
	v_lshl_add_u64 v[2:3], v[2:3], 0, s[14:15]
	v_lshl_add_u64 v[4:5], v[0:1], 3, v[4:5]
	s_lshl_b64 s[2:3], s[0:1], 3
	s_mov_b64 s[6:7], 0
	s_mov_b32 s13, 0x2f800000
	s_mov_b32 s14, 0xcf800000
	v_mov_b32_e32 v8, s1
	s_branch .LBB7_3
.LBB7_2:                                ;   in Loop: Header=BB7_3 Depth=1
	s_or_b64 exec, exec, s[10:11]
	v_trunc_f32_e32 v9, v9
	v_mul_f32_e64 v10, |v9|, s13
	v_floor_f32_e32 v10, v10
	v_cvt_u32_f32_e32 v11, v10
	v_fma_f32 v10, v10, s14, |v9|
	v_cvt_u32_f32_e32 v10, v10
	v_ashrrev_i32_e32 v9, 31, v9
	v_xor_b32_e32 v11, v11, v9
	v_lshl_add_u64 v[0:1], v[0:1], 0, s[0:1]
	v_xor_b32_e32 v10, v10, v9
	v_sub_co_u32_e32 v10, vcc, v10, v9
	s_nop 1
	v_subb_co_u32_e32 v11, vcc, v11, v9, vcc
	v_subrev_co_u32_e32 v2, vcc, s0, v2
	global_store_dwordx2 v[4:5], v[10:11], off
	s_nop 0
	v_subb_co_u32_e32 v3, vcc, v3, v8, vcc
	v_cmp_le_i64_e32 vcc, s[8:9], v[0:1]
	s_or_b64 s[6:7], vcc, s[6:7]
	v_lshl_add_u64 v[4:5], v[4:5], 0, s[2:3]
	s_andn2_b64 exec, exec, s[6:7]
	s_cbranch_execz .LBB7_7
.LBB7_3:                                ; =>This Inner Loop Header: Depth=1
	v_cmp_le_i64_e32 vcc, s[4:5], v[0:1]
                                        ; implicit-def: $vgpr9
	s_and_saveexec_b64 s[10:11], vcc
	s_xor_b64 s[10:11], exec, s[10:11]
	s_cbranch_execz .LBB7_5
; %bb.4:                                ;   in Loop: Header=BB7_3 Depth=1
	v_xor_b32_e32 v10, v2, v3
	v_ffbh_i32_e32 v9, v3
	v_ashrrev_i32_e32 v10, 31, v10
	v_add_u32_e32 v9, -1, v9
	v_add_u32_e32 v10, 32, v10
	v_min_u32_e32 v9, v9, v10
	v_lshlrev_b64 v[10:11], v9, v[2:3]
	v_min_u32_e32 v10, 1, v10
	v_or_b32_e32 v10, v11, v10
	v_cvt_f32_i32_e32 v10, v10
	v_sub_u32_e32 v9, 32, v9
	v_ldexp_f32 v9, v10, v9
	v_fma_f32 v9, -s12, v9, v6
.LBB7_5:                                ;   in Loop: Header=BB7_3 Depth=1
	s_andn2_saveexec_b64 s[10:11], s[10:11]
	s_cbranch_execz .LBB7_2
; %bb.6:                                ;   in Loop: Header=BB7_3 Depth=1
	v_ffbh_u32_e32 v9, v1
	v_min_u32_e32 v9, 32, v9
	v_lshlrev_b64 v[10:11], v9, v[0:1]
	v_min_u32_e32 v10, 1, v10
	v_or_b32_e32 v10, v11, v10
	v_cvt_f32_u32_e32 v10, v10
	v_sub_u32_e32 v9, 32, v9
	v_ldexp_f32 v9, v10, v9
	v_fma_f32 v9, s12, v9, v7
	s_branch .LBB7_2
.LBB7_7:
	s_endpgm
	.section	.rodata,"a",@progbits
	.p2align	6, 0x0
	.amdhsa_kernel _ZN12_GLOBAL__N_141elementwise_kernel_with_index_grid_strideIlZZZN2at6native17linspace_cuda_outERKN3c106ScalarES6_lRNS1_6TensorEENKUlvE_clEvENKUlvE2_clEvEUllE_EEvT_T0_PN15function_traitsISD_E11result_typeE
		.amdhsa_group_segment_fixed_size 0
		.amdhsa_private_segment_fixed_size 0
		.amdhsa_kernarg_size 312
		.amdhsa_user_sgpr_count 2
		.amdhsa_user_sgpr_dispatch_ptr 0
		.amdhsa_user_sgpr_queue_ptr 0
		.amdhsa_user_sgpr_kernarg_segment_ptr 1
		.amdhsa_user_sgpr_dispatch_id 0
		.amdhsa_user_sgpr_kernarg_preload_length 0
		.amdhsa_user_sgpr_kernarg_preload_offset 0
		.amdhsa_user_sgpr_private_segment_size 0
		.amdhsa_uses_dynamic_stack 0
		.amdhsa_enable_private_segment 0
		.amdhsa_system_sgpr_workgroup_id_x 1
		.amdhsa_system_sgpr_workgroup_id_y 0
		.amdhsa_system_sgpr_workgroup_id_z 0
		.amdhsa_system_sgpr_workgroup_info 0
		.amdhsa_system_vgpr_workitem_id 0
		.amdhsa_next_free_vgpr 12
		.amdhsa_next_free_sgpr 20
		.amdhsa_accum_offset 12
		.amdhsa_reserve_vcc 1
		.amdhsa_float_round_mode_32 0
		.amdhsa_float_round_mode_16_64 0
		.amdhsa_float_denorm_mode_32 3
		.amdhsa_float_denorm_mode_16_64 3
		.amdhsa_dx10_clamp 1
		.amdhsa_ieee_mode 1
		.amdhsa_fp16_overflow 0
		.amdhsa_tg_split 0
		.amdhsa_exception_fp_ieee_invalid_op 0
		.amdhsa_exception_fp_denorm_src 0
		.amdhsa_exception_fp_ieee_div_zero 0
		.amdhsa_exception_fp_ieee_overflow 0
		.amdhsa_exception_fp_ieee_underflow 0
		.amdhsa_exception_fp_ieee_inexact 0
		.amdhsa_exception_int_div_zero 0
	.end_amdhsa_kernel
	.section	.text._ZN12_GLOBAL__N_141elementwise_kernel_with_index_grid_strideIlZZZN2at6native17linspace_cuda_outERKN3c106ScalarES6_lRNS1_6TensorEENKUlvE_clEvENKUlvE2_clEvEUllE_EEvT_T0_PN15function_traitsISD_E11result_typeE,"axG",@progbits,_ZN12_GLOBAL__N_141elementwise_kernel_with_index_grid_strideIlZZZN2at6native17linspace_cuda_outERKN3c106ScalarES6_lRNS1_6TensorEENKUlvE_clEvENKUlvE2_clEvEUllE_EEvT_T0_PN15function_traitsISD_E11result_typeE,comdat
.Lfunc_end7:
	.size	_ZN12_GLOBAL__N_141elementwise_kernel_with_index_grid_strideIlZZZN2at6native17linspace_cuda_outERKN3c106ScalarES6_lRNS1_6TensorEENKUlvE_clEvENKUlvE2_clEvEUllE_EEvT_T0_PN15function_traitsISD_E11result_typeE, .Lfunc_end7-_ZN12_GLOBAL__N_141elementwise_kernel_with_index_grid_strideIlZZZN2at6native17linspace_cuda_outERKN3c106ScalarES6_lRNS1_6TensorEENKUlvE_clEvENKUlvE2_clEvEUllE_EEvT_T0_PN15function_traitsISD_E11result_typeE
                                        ; -- End function
	.set _ZN12_GLOBAL__N_141elementwise_kernel_with_index_grid_strideIlZZZN2at6native17linspace_cuda_outERKN3c106ScalarES6_lRNS1_6TensorEENKUlvE_clEvENKUlvE2_clEvEUllE_EEvT_T0_PN15function_traitsISD_E11result_typeE.num_vgpr, 12
	.set _ZN12_GLOBAL__N_141elementwise_kernel_with_index_grid_strideIlZZZN2at6native17linspace_cuda_outERKN3c106ScalarES6_lRNS1_6TensorEENKUlvE_clEvENKUlvE2_clEvEUllE_EEvT_T0_PN15function_traitsISD_E11result_typeE.num_agpr, 0
	.set _ZN12_GLOBAL__N_141elementwise_kernel_with_index_grid_strideIlZZZN2at6native17linspace_cuda_outERKN3c106ScalarES6_lRNS1_6TensorEENKUlvE_clEvENKUlvE2_clEvEUllE_EEvT_T0_PN15function_traitsISD_E11result_typeE.numbered_sgpr, 20
	.set _ZN12_GLOBAL__N_141elementwise_kernel_with_index_grid_strideIlZZZN2at6native17linspace_cuda_outERKN3c106ScalarES6_lRNS1_6TensorEENKUlvE_clEvENKUlvE2_clEvEUllE_EEvT_T0_PN15function_traitsISD_E11result_typeE.num_named_barrier, 0
	.set _ZN12_GLOBAL__N_141elementwise_kernel_with_index_grid_strideIlZZZN2at6native17linspace_cuda_outERKN3c106ScalarES6_lRNS1_6TensorEENKUlvE_clEvENKUlvE2_clEvEUllE_EEvT_T0_PN15function_traitsISD_E11result_typeE.private_seg_size, 0
	.set _ZN12_GLOBAL__N_141elementwise_kernel_with_index_grid_strideIlZZZN2at6native17linspace_cuda_outERKN3c106ScalarES6_lRNS1_6TensorEENKUlvE_clEvENKUlvE2_clEvEUllE_EEvT_T0_PN15function_traitsISD_E11result_typeE.uses_vcc, 1
	.set _ZN12_GLOBAL__N_141elementwise_kernel_with_index_grid_strideIlZZZN2at6native17linspace_cuda_outERKN3c106ScalarES6_lRNS1_6TensorEENKUlvE_clEvENKUlvE2_clEvEUllE_EEvT_T0_PN15function_traitsISD_E11result_typeE.uses_flat_scratch, 0
	.set _ZN12_GLOBAL__N_141elementwise_kernel_with_index_grid_strideIlZZZN2at6native17linspace_cuda_outERKN3c106ScalarES6_lRNS1_6TensorEENKUlvE_clEvENKUlvE2_clEvEUllE_EEvT_T0_PN15function_traitsISD_E11result_typeE.has_dyn_sized_stack, 0
	.set _ZN12_GLOBAL__N_141elementwise_kernel_with_index_grid_strideIlZZZN2at6native17linspace_cuda_outERKN3c106ScalarES6_lRNS1_6TensorEENKUlvE_clEvENKUlvE2_clEvEUllE_EEvT_T0_PN15function_traitsISD_E11result_typeE.has_recursion, 0
	.set _ZN12_GLOBAL__N_141elementwise_kernel_with_index_grid_strideIlZZZN2at6native17linspace_cuda_outERKN3c106ScalarES6_lRNS1_6TensorEENKUlvE_clEvENKUlvE2_clEvEUllE_EEvT_T0_PN15function_traitsISD_E11result_typeE.has_indirect_call, 0
	.section	.AMDGPU.csdata,"",@progbits
; Kernel info:
; codeLenInByte = 540
; TotalNumSgprs: 26
; NumVgprs: 12
; NumAgprs: 0
; TotalNumVgprs: 12
; ScratchSize: 0
; MemoryBound: 0
; FloatMode: 240
; IeeeMode: 1
; LDSByteSize: 0 bytes/workgroup (compile time only)
; SGPRBlocks: 3
; VGPRBlocks: 1
; NumSGPRsForWavesPerEU: 26
; NumVGPRsForWavesPerEU: 12
; AccumOffset: 12
; Occupancy: 8
; WaveLimiterHint : 0
; COMPUTE_PGM_RSRC2:SCRATCH_EN: 0
; COMPUTE_PGM_RSRC2:USER_SGPR: 2
; COMPUTE_PGM_RSRC2:TRAP_HANDLER: 0
; COMPUTE_PGM_RSRC2:TGID_X_EN: 1
; COMPUTE_PGM_RSRC2:TGID_Y_EN: 0
; COMPUTE_PGM_RSRC2:TGID_Z_EN: 0
; COMPUTE_PGM_RSRC2:TIDIG_COMP_CNT: 0
; COMPUTE_PGM_RSRC3_GFX90A:ACCUM_OFFSET: 2
; COMPUTE_PGM_RSRC3_GFX90A:TG_SPLIT: 0
	.section	.text._ZN12_GLOBAL__N_141elementwise_kernel_with_index_grid_strideIiZZZN2at6native17linspace_cuda_outERKN3c106ScalarES6_lRNS1_6TensorEENKUlvE_clEvENKUlvE3_clEvEUllE_EEvT_T0_PN15function_traitsISD_E11result_typeE,"axG",@progbits,_ZN12_GLOBAL__N_141elementwise_kernel_with_index_grid_strideIiZZZN2at6native17linspace_cuda_outERKN3c106ScalarES6_lRNS1_6TensorEENKUlvE_clEvENKUlvE3_clEvEUllE_EEvT_T0_PN15function_traitsISD_E11result_typeE,comdat
	.globl	_ZN12_GLOBAL__N_141elementwise_kernel_with_index_grid_strideIiZZZN2at6native17linspace_cuda_outERKN3c106ScalarES6_lRNS1_6TensorEENKUlvE_clEvENKUlvE3_clEvEUllE_EEvT_T0_PN15function_traitsISD_E11result_typeE ; -- Begin function _ZN12_GLOBAL__N_141elementwise_kernel_with_index_grid_strideIiZZZN2at6native17linspace_cuda_outERKN3c106ScalarES6_lRNS1_6TensorEENKUlvE_clEvENKUlvE3_clEvEUllE_EEvT_T0_PN15function_traitsISD_E11result_typeE
	.p2align	8
	.type	_ZN12_GLOBAL__N_141elementwise_kernel_with_index_grid_strideIiZZZN2at6native17linspace_cuda_outERKN3c106ScalarES6_lRNS1_6TensorEENKUlvE_clEvENKUlvE3_clEvEUllE_EEvT_T0_PN15function_traitsISD_E11result_typeE,@function
_ZN12_GLOBAL__N_141elementwise_kernel_with_index_grid_strideIiZZZN2at6native17linspace_cuda_outERKN3c106ScalarES6_lRNS1_6TensorEENKUlvE_clEvENKUlvE3_clEvEUllE_EEvT_T0_PN15function_traitsISD_E11result_typeE: ; @_ZN12_GLOBAL__N_141elementwise_kernel_with_index_grid_strideIiZZZN2at6native17linspace_cuda_outERKN3c106ScalarES6_lRNS1_6TensorEENKUlvE_clEvENKUlvE3_clEvEUllE_EEvT_T0_PN15function_traitsISD_E11result_typeE
; %bb.0:
	s_load_dword s3, s[0:1], 0x3c
	s_load_dword s33, s[0:1], 0x0
	s_add_u32 s4, s0, 48
	s_addc_u32 s5, s1, 0
	s_waitcnt lgkmcnt(0)
	s_and_b32 s3, s3, 0xffff
	s_mul_i32 s6, s2, s3
	v_add_u32_e32 v2, s6, v0
	v_cmp_gt_i32_e32 vcc, s33, v2
	s_and_saveexec_b64 s[6:7], vcc
	s_cbranch_execz .LBB8_12
; %bb.1:
	s_load_dword s7, s[4:5], 0x0
	s_load_dword s13, s[0:1], 0x8
	s_load_dwordx2 s[14:15], s[0:1], 0x10
	s_load_dword s6, s[0:1], 0x18
	s_load_dwordx4 s[8:11], s[0:1], 0x20
	s_waitcnt lgkmcnt(0)
	s_mul_i32 s12, s7, s3
	v_cvt_f32_u32_e32 v1, s12
	s_ashr_i32 s0, s13, 16
	v_cvt_f32_i32_e32 v8, s0
	s_sext_i32_i16 s0, s13
	v_rcp_iflag_f32_e32 v1, v1
	v_cvt_f32_i32_e32 v10, s0
	s_add_i32 s0, s2, s7
	s_mul_i32 s0, s0, s3
	v_mul_f32_e32 v1, 0x4f7ffffe, v1
	v_add_u32_e32 v3, s0, v0
	v_cvt_u32_f32_e32 v1, v1
	v_mov_b32_e32 v5, s0
	v_cmp_gt_i32_e32 vcc, s33, v3
	v_max_i32_e32 v4, s33, v3
	s_nop 0
	v_addc_co_u32_e64 v0, s[0:1], v0, v5, vcc
	s_sub_i32 s0, 0, s12
	s_nop 0
	v_mul_lo_u32 v3, s0, v1
	v_mul_hi_u32 v3, v1, v3
	v_sub_u32_e32 v0, v4, v0
	v_add_u32_e32 v1, v1, v3
	v_mul_hi_u32 v1, v0, v1
	v_mul_lo_u32 v3, v1, s12
	v_sub_u32_e32 v0, v0, v3
	v_add_u32_e32 v3, 1, v1
	v_cmp_le_u32_e64 s[0:1], s12, v0
	s_nop 1
	v_cndmask_b32_e64 v1, v1, v3, s[0:1]
	v_subrev_u32_e32 v3, s12, v0
	v_cndmask_b32_e64 v0, v0, v3, s[0:1]
	v_add_u32_e32 v3, 1, v1
	v_cmp_le_u32_e64 s[0:1], s12, v0
	s_nop 1
	v_cndmask_b32_e64 v0, v1, v3, s[0:1]
	v_addc_co_u32_e32 v14, vcc, 1, v0, vcc
	v_cmp_lt_u32_e32 vcc, 3, v14
	s_mov_b64 s[0:1], -1
	s_and_saveexec_b64 s[16:17], vcc
	s_cbranch_execz .LBB8_5
; %bb.2:
	v_add_u32_e32 v3, s12, v2
	v_mad_u64_u32 v[0:1], s[0:1], s12, 3, v[2:3]
	v_lshl_add_u32 v4, s12, 1, v2
	v_mov_b32_e32 v5, v0
	v_and_b32_e32 v15, -4, v14
	s_lshl_b32 s13, s12, 2
	v_mov_b64_e32 v[6:7], v[4:5]
	v_mov_b32_e32 v9, v8
	v_mov_b32_e32 v11, v10
	s_mov_b32 s18, s8
	s_mov_b32 s19, s9
	;; [unrolled: 1-line block ×20, first 2 shown]
	s_mov_b64 s[36:37], 0
	v_mov_b32_e32 v0, v8
	v_mov_b32_e32 v1, v8
	v_mov_b32_e32 v12, v10
	v_mov_b32_e32 v13, v10
	s_xor_b32 s39, s6, 0x80000000
	s_xor_b32 s38, s6, 0x80000000
	v_mov_b32_e32 v16, v15
	v_mov_b64_e32 v[4:5], v[2:3]
.LBB8_3:                                ; =>This Inner Loop Header: Depth=1
	v_not_b32_e32 v30, v4
	v_not_b32_e32 v32, v5
	;; [unrolled: 1-line block ×4, first 2 shown]
	v_ashrrev_i32_e32 v33, 31, v32
	v_ashrrev_i32_e32 v31, 31, v30
	;; [unrolled: 1-line block ×4, first 2 shown]
	v_lshl_add_u64 v[30:31], s[14:15], 0, v[30:31]
	v_lshl_add_u64 v[32:33], s[26:27], 0, v[32:33]
	;; [unrolled: 1-line block ×4, first 2 shown]
	v_xor_b32_e32 v3, v32, v33
	v_xor_b32_e32 v46, v30, v31
	v_ffbh_i32_e32 v17, v33
	v_ffbh_i32_e32 v47, v31
	v_xor_b32_e32 v48, v28, v29
	v_xor_b32_e32 v50, v26, v27
	v_ashrrev_i32_e32 v3, 31, v3
	v_ashrrev_i32_e32 v46, 31, v46
	v_ffbh_i32_e32 v49, v29
	v_ffbh_i32_e32 v51, v27
	v_add_u32_e32 v17, -1, v17
	v_add_u32_e32 v47, -1, v47
	v_ashrrev_i32_e32 v48, 31, v48
	v_ashrrev_i32_e32 v50, 31, v50
	v_add_u32_e32 v3, 32, v3
	v_add_u32_e32 v46, 32, v46
	v_add_u32_e32 v49, -1, v49
	v_add_u32_e32 v51, -1, v51
	v_add_u32_e32 v48, 32, v48
	v_add_u32_e32 v50, 32, v50
	v_min_u32_e32 v3, v17, v3
	v_min_u32_e32 v17, v47, v46
	;; [unrolled: 1-line block ×4, first 2 shown]
	v_lshlrev_b64 v[32:33], v3, v[32:33]
	v_lshlrev_b64 v[30:31], v17, v[30:31]
	;; [unrolled: 1-line block ×4, first 2 shown]
	v_min_u32_e32 v32, 1, v32
	v_min_u32_e32 v30, 1, v30
	;; [unrolled: 1-line block ×4, first 2 shown]
	v_or_b32_e32 v32, v33, v32
	v_or_b32_e32 v30, v31, v30
	;; [unrolled: 1-line block ×4, first 2 shown]
	v_cvt_f32_i32_e32 v27, v32
	v_cvt_f32_i32_e32 v29, v30
	;; [unrolled: 1-line block ×8, first 2 shown]
	v_sub_u32_e32 v3, 32, v3
	v_sub_u32_e32 v17, 32, v17
	v_ashrrev_i32_e32 v19, 31, v4
	v_mov_b32_e32 v18, v4
	v_ashrrev_i32_e32 v23, 31, v6
	v_mov_b32_e32 v22, v6
	v_ldexp_f32 v27, v27, v3
	v_ldexp_f32 v26, v29, v17
	v_ashrrev_i32_e32 v21, 31, v5
	v_mov_b32_e32 v20, v5
	v_lshl_add_u64 v[42:43], v[22:23], 1, s[10:11]
	v_pk_fma_f32 v[34:35], s[6:7], v[34:35], v[10:11]
	v_sub_u32_e32 v46, 32, v46
	v_sub_u32_e32 v47, 32, v47
	v_cmp_gt_i64_e64 s[0:1], s[22:23], v[22:23]
	v_pk_fma_f32 v[22:23], s[6:7], v[26:27], v[8:9] neg_lo:[1,0,0] neg_hi:[1,0,0]
	v_cmp_gt_i64_e64 s[4:5], s[18:19], v[18:19]
	v_add_u32_e32 v16, -4, v16
	v_ldexp_f32 v29, v28, v46
	v_ldexp_f32 v28, v30, v47
	v_cmp_gt_i64_e64 s[2:3], s[20:21], v[20:21]
	v_cndmask_b32_e64 v3, v22, v34, s[4:5]
	v_ashrrev_i32_e32 v25, 31, v7
	v_mov_b32_e32 v24, v7
	v_cmp_eq_u32_e32 vcc, 0, v16
	v_pk_fma_f32 v[36:37], s[34:35], v[36:37], v[12:13]
	v_pk_fma_f32 v[28:29], s[38:39], v[28:29], v[0:1]
	v_cndmask_b32_e64 v17, v23, v35, s[2:3]
	v_cvt_i32_f32_e32 v3, v3
	v_lshl_add_u64 v[38:39], v[18:19], 1, s[10:11]
	s_or_b64 s[36:37], vcc, s[36:37]
	v_cmp_gt_i64_e32 vcc, s[24:25], v[24:25]
	v_cndmask_b32_e64 v18, v28, v36, s[0:1]
	v_cvt_i32_f32_e32 v17, v17
	v_cndmask_b32_e32 v19, v29, v37, vcc
	v_cvt_i32_f32_e32 v18, v18
	v_add_u32_e32 v7, s42, v7
	v_add_u32_e32 v6, s41, v6
	;; [unrolled: 1-line block ×4, first 2 shown]
	v_cvt_i32_f32_e32 v19, v19
	v_lshl_add_u64 v[40:41], v[20:21], 1, s[10:11]
	v_lshl_add_u64 v[44:45], v[24:25], 1, s[10:11]
	global_store_short v[38:39], v3, off
	global_store_short v[40:41], v17, off
	;; [unrolled: 1-line block ×4, first 2 shown]
	s_andn2_b64 exec, exec, s[36:37]
	s_cbranch_execnz .LBB8_3
; %bb.4:
	s_or_b64 exec, exec, s[36:37]
	v_mad_u64_u32 v[2:3], s[0:1], v15, s12, v[2:3]
	v_cmp_ne_u32_e32 vcc, v14, v15
	s_orn2_b64 s[0:1], vcc, exec
.LBB8_5:
	s_or_b64 exec, exec, s[16:17]
	s_and_b64 exec, exec, s[0:1]
	s_cbranch_execz .LBB8_12
; %bb.6:
	v_ashrrev_i32_e32 v3, 31, v2
	v_not_b32_e32 v1, v3
	v_not_b32_e32 v0, v2
	s_ashr_i32 s13, s12, 31
	v_lshl_add_u64 v[0:1], v[0:1], 0, s[14:15]
	v_lshl_add_u64 v[4:5], v[2:3], 1, s[10:11]
	s_lshl_b64 s[0:1], s[12:13], 1
	s_mov_b64 s[2:3], 0
	v_mov_b32_e32 v6, s13
	s_branch .LBB8_8
.LBB8_7:                                ;   in Loop: Header=BB8_8 Depth=1
	s_or_b64 exec, exec, s[4:5]
	v_cvt_i32_f32_e32 v7, v7
	v_subrev_co_u32_e32 v0, vcc, s12, v0
	v_lshl_add_u64 v[2:3], v[2:3], 0, s[12:13]
	s_nop 0
	v_subb_co_u32_e32 v1, vcc, v1, v6, vcc
	v_cmp_le_i32_e32 vcc, s33, v2
	global_store_short v[4:5], v7, off
	s_or_b64 s[2:3], vcc, s[2:3]
	v_lshl_add_u64 v[4:5], v[4:5], 0, s[0:1]
	s_andn2_b64 exec, exec, s[2:3]
	s_cbranch_execz .LBB8_12
.LBB8_8:                                ; =>This Inner Loop Header: Depth=1
	v_cmp_le_i64_e32 vcc, s[8:9], v[2:3]
                                        ; implicit-def: $vgpr7
	s_and_saveexec_b64 s[4:5], vcc
	s_xor_b64 s[4:5], exec, s[4:5]
	s_cbranch_execz .LBB8_10
; %bb.9:                                ;   in Loop: Header=BB8_8 Depth=1
	v_xor_b32_e32 v9, v0, v1
	v_ffbh_i32_e32 v7, v1
	v_ashrrev_i32_e32 v9, 31, v9
	v_add_u32_e32 v7, -1, v7
	v_add_u32_e32 v9, 32, v9
	v_min_u32_e32 v7, v7, v9
	v_lshlrev_b64 v[12:13], v7, v[0:1]
	v_min_u32_e32 v9, 1, v12
	v_or_b32_e32 v9, v13, v9
	v_cvt_f32_i32_e32 v9, v9
	v_sub_u32_e32 v7, 32, v7
	v_ldexp_f32 v7, v9, v7
	v_fma_f32 v7, -s6, v7, v8
.LBB8_10:                               ;   in Loop: Header=BB8_8 Depth=1
	s_andn2_saveexec_b64 s[4:5], s[4:5]
	s_cbranch_execz .LBB8_7
; %bb.11:                               ;   in Loop: Header=BB8_8 Depth=1
	v_cvt_f32_i32_e32 v7, v2
	v_fma_f32 v7, s6, v7, v10
	s_branch .LBB8_7
.LBB8_12:
	s_endpgm
	.section	.rodata,"a",@progbits
	.p2align	6, 0x0
	.amdhsa_kernel _ZN12_GLOBAL__N_141elementwise_kernel_with_index_grid_strideIiZZZN2at6native17linspace_cuda_outERKN3c106ScalarES6_lRNS1_6TensorEENKUlvE_clEvENKUlvE3_clEvEUllE_EEvT_T0_PN15function_traitsISD_E11result_typeE
		.amdhsa_group_segment_fixed_size 0
		.amdhsa_private_segment_fixed_size 0
		.amdhsa_kernarg_size 304
		.amdhsa_user_sgpr_count 2
		.amdhsa_user_sgpr_dispatch_ptr 0
		.amdhsa_user_sgpr_queue_ptr 0
		.amdhsa_user_sgpr_kernarg_segment_ptr 1
		.amdhsa_user_sgpr_dispatch_id 0
		.amdhsa_user_sgpr_kernarg_preload_length 0
		.amdhsa_user_sgpr_kernarg_preload_offset 0
		.amdhsa_user_sgpr_private_segment_size 0
		.amdhsa_uses_dynamic_stack 0
		.amdhsa_enable_private_segment 0
		.amdhsa_system_sgpr_workgroup_id_x 1
		.amdhsa_system_sgpr_workgroup_id_y 0
		.amdhsa_system_sgpr_workgroup_id_z 0
		.amdhsa_system_sgpr_workgroup_info 0
		.amdhsa_system_vgpr_workitem_id 0
		.amdhsa_next_free_vgpr 52
		.amdhsa_next_free_sgpr 43
		.amdhsa_accum_offset 52
		.amdhsa_reserve_vcc 1
		.amdhsa_float_round_mode_32 0
		.amdhsa_float_round_mode_16_64 0
		.amdhsa_float_denorm_mode_32 3
		.amdhsa_float_denorm_mode_16_64 3
		.amdhsa_dx10_clamp 1
		.amdhsa_ieee_mode 1
		.amdhsa_fp16_overflow 0
		.amdhsa_tg_split 0
		.amdhsa_exception_fp_ieee_invalid_op 0
		.amdhsa_exception_fp_denorm_src 0
		.amdhsa_exception_fp_ieee_div_zero 0
		.amdhsa_exception_fp_ieee_overflow 0
		.amdhsa_exception_fp_ieee_underflow 0
		.amdhsa_exception_fp_ieee_inexact 0
		.amdhsa_exception_int_div_zero 0
	.end_amdhsa_kernel
	.section	.text._ZN12_GLOBAL__N_141elementwise_kernel_with_index_grid_strideIiZZZN2at6native17linspace_cuda_outERKN3c106ScalarES6_lRNS1_6TensorEENKUlvE_clEvENKUlvE3_clEvEUllE_EEvT_T0_PN15function_traitsISD_E11result_typeE,"axG",@progbits,_ZN12_GLOBAL__N_141elementwise_kernel_with_index_grid_strideIiZZZN2at6native17linspace_cuda_outERKN3c106ScalarES6_lRNS1_6TensorEENKUlvE_clEvENKUlvE3_clEvEUllE_EEvT_T0_PN15function_traitsISD_E11result_typeE,comdat
.Lfunc_end8:
	.size	_ZN12_GLOBAL__N_141elementwise_kernel_with_index_grid_strideIiZZZN2at6native17linspace_cuda_outERKN3c106ScalarES6_lRNS1_6TensorEENKUlvE_clEvENKUlvE3_clEvEUllE_EEvT_T0_PN15function_traitsISD_E11result_typeE, .Lfunc_end8-_ZN12_GLOBAL__N_141elementwise_kernel_with_index_grid_strideIiZZZN2at6native17linspace_cuda_outERKN3c106ScalarES6_lRNS1_6TensorEENKUlvE_clEvENKUlvE3_clEvEUllE_EEvT_T0_PN15function_traitsISD_E11result_typeE
                                        ; -- End function
	.set _ZN12_GLOBAL__N_141elementwise_kernel_with_index_grid_strideIiZZZN2at6native17linspace_cuda_outERKN3c106ScalarES6_lRNS1_6TensorEENKUlvE_clEvENKUlvE3_clEvEUllE_EEvT_T0_PN15function_traitsISD_E11result_typeE.num_vgpr, 52
	.set _ZN12_GLOBAL__N_141elementwise_kernel_with_index_grid_strideIiZZZN2at6native17linspace_cuda_outERKN3c106ScalarES6_lRNS1_6TensorEENKUlvE_clEvENKUlvE3_clEvEUllE_EEvT_T0_PN15function_traitsISD_E11result_typeE.num_agpr, 0
	.set _ZN12_GLOBAL__N_141elementwise_kernel_with_index_grid_strideIiZZZN2at6native17linspace_cuda_outERKN3c106ScalarES6_lRNS1_6TensorEENKUlvE_clEvENKUlvE3_clEvEUllE_EEvT_T0_PN15function_traitsISD_E11result_typeE.numbered_sgpr, 43
	.set _ZN12_GLOBAL__N_141elementwise_kernel_with_index_grid_strideIiZZZN2at6native17linspace_cuda_outERKN3c106ScalarES6_lRNS1_6TensorEENKUlvE_clEvENKUlvE3_clEvEUllE_EEvT_T0_PN15function_traitsISD_E11result_typeE.num_named_barrier, 0
	.set _ZN12_GLOBAL__N_141elementwise_kernel_with_index_grid_strideIiZZZN2at6native17linspace_cuda_outERKN3c106ScalarES6_lRNS1_6TensorEENKUlvE_clEvENKUlvE3_clEvEUllE_EEvT_T0_PN15function_traitsISD_E11result_typeE.private_seg_size, 0
	.set _ZN12_GLOBAL__N_141elementwise_kernel_with_index_grid_strideIiZZZN2at6native17linspace_cuda_outERKN3c106ScalarES6_lRNS1_6TensorEENKUlvE_clEvENKUlvE3_clEvEUllE_EEvT_T0_PN15function_traitsISD_E11result_typeE.uses_vcc, 1
	.set _ZN12_GLOBAL__N_141elementwise_kernel_with_index_grid_strideIiZZZN2at6native17linspace_cuda_outERKN3c106ScalarES6_lRNS1_6TensorEENKUlvE_clEvENKUlvE3_clEvEUllE_EEvT_T0_PN15function_traitsISD_E11result_typeE.uses_flat_scratch, 0
	.set _ZN12_GLOBAL__N_141elementwise_kernel_with_index_grid_strideIiZZZN2at6native17linspace_cuda_outERKN3c106ScalarES6_lRNS1_6TensorEENKUlvE_clEvENKUlvE3_clEvEUllE_EEvT_T0_PN15function_traitsISD_E11result_typeE.has_dyn_sized_stack, 0
	.set _ZN12_GLOBAL__N_141elementwise_kernel_with_index_grid_strideIiZZZN2at6native17linspace_cuda_outERKN3c106ScalarES6_lRNS1_6TensorEENKUlvE_clEvENKUlvE3_clEvEUllE_EEvT_T0_PN15function_traitsISD_E11result_typeE.has_recursion, 0
	.set _ZN12_GLOBAL__N_141elementwise_kernel_with_index_grid_strideIiZZZN2at6native17linspace_cuda_outERKN3c106ScalarES6_lRNS1_6TensorEENKUlvE_clEvENKUlvE3_clEvEUllE_EEvT_T0_PN15function_traitsISD_E11result_typeE.has_indirect_call, 0
	.section	.AMDGPU.csdata,"",@progbits
; Kernel info:
; codeLenInByte = 1264
; TotalNumSgprs: 49
; NumVgprs: 52
; NumAgprs: 0
; TotalNumVgprs: 52
; ScratchSize: 0
; MemoryBound: 0
; FloatMode: 240
; IeeeMode: 1
; LDSByteSize: 0 bytes/workgroup (compile time only)
; SGPRBlocks: 6
; VGPRBlocks: 6
; NumSGPRsForWavesPerEU: 49
; NumVGPRsForWavesPerEU: 52
; AccumOffset: 52
; Occupancy: 8
; WaveLimiterHint : 0
; COMPUTE_PGM_RSRC2:SCRATCH_EN: 0
; COMPUTE_PGM_RSRC2:USER_SGPR: 2
; COMPUTE_PGM_RSRC2:TRAP_HANDLER: 0
; COMPUTE_PGM_RSRC2:TGID_X_EN: 1
; COMPUTE_PGM_RSRC2:TGID_Y_EN: 0
; COMPUTE_PGM_RSRC2:TGID_Z_EN: 0
; COMPUTE_PGM_RSRC2:TIDIG_COMP_CNT: 0
; COMPUTE_PGM_RSRC3_GFX90A:ACCUM_OFFSET: 12
; COMPUTE_PGM_RSRC3_GFX90A:TG_SPLIT: 0
	.section	.text._ZN12_GLOBAL__N_141elementwise_kernel_with_index_grid_strideIlZZZN2at6native17linspace_cuda_outERKN3c106ScalarES6_lRNS1_6TensorEENKUlvE_clEvENKUlvE3_clEvEUllE_EEvT_T0_PN15function_traitsISD_E11result_typeE,"axG",@progbits,_ZN12_GLOBAL__N_141elementwise_kernel_with_index_grid_strideIlZZZN2at6native17linspace_cuda_outERKN3c106ScalarES6_lRNS1_6TensorEENKUlvE_clEvENKUlvE3_clEvEUllE_EEvT_T0_PN15function_traitsISD_E11result_typeE,comdat
	.globl	_ZN12_GLOBAL__N_141elementwise_kernel_with_index_grid_strideIlZZZN2at6native17linspace_cuda_outERKN3c106ScalarES6_lRNS1_6TensorEENKUlvE_clEvENKUlvE3_clEvEUllE_EEvT_T0_PN15function_traitsISD_E11result_typeE ; -- Begin function _ZN12_GLOBAL__N_141elementwise_kernel_with_index_grid_strideIlZZZN2at6native17linspace_cuda_outERKN3c106ScalarES6_lRNS1_6TensorEENKUlvE_clEvENKUlvE3_clEvEUllE_EEvT_T0_PN15function_traitsISD_E11result_typeE
	.p2align	8
	.type	_ZN12_GLOBAL__N_141elementwise_kernel_with_index_grid_strideIlZZZN2at6native17linspace_cuda_outERKN3c106ScalarES6_lRNS1_6TensorEENKUlvE_clEvENKUlvE3_clEvEUllE_EEvT_T0_PN15function_traitsISD_E11result_typeE,@function
_ZN12_GLOBAL__N_141elementwise_kernel_with_index_grid_strideIlZZZN2at6native17linspace_cuda_outERKN3c106ScalarES6_lRNS1_6TensorEENKUlvE_clEvENKUlvE3_clEvEUllE_EEvT_T0_PN15function_traitsISD_E11result_typeE: ; @_ZN12_GLOBAL__N_141elementwise_kernel_with_index_grid_strideIlZZZN2at6native17linspace_cuda_outERKN3c106ScalarES6_lRNS1_6TensorEENKUlvE_clEvENKUlvE3_clEvEUllE_EEvT_T0_PN15function_traitsISD_E11result_typeE
; %bb.0:
	s_load_dword s3, s[0:1], 0x3c
	s_load_dwordx2 s[6:7], s[0:1], 0x0
	s_add_u32 s4, s0, 48
	s_addc_u32 s5, s1, 0
	v_mov_b32_e32 v1, 0
	s_waitcnt lgkmcnt(0)
	s_and_b32 s3, s3, 0xffff
	v_mov_b32_e32 v2, s2
	v_mad_u64_u32 v[2:3], s[8:9], s3, v2, v[0:1]
	v_cmp_gt_i64_e32 vcc, s[6:7], v[2:3]
	s_and_saveexec_b64 s[8:9], vcc
	s_cbranch_execz .LBB9_18
; %bb.1:
	s_load_dword s4, s[4:5], 0x0
	v_mov_b32_e32 v4, s3
	s_mov_b32 s5, 0
	v_mov_b32_e32 v5, s5
	s_waitcnt lgkmcnt(0)
	s_add_u32 s2, s2, s4
	s_mul_hi_u32 s13, s3, s4
	s_mul_i32 s12, s3, s4
	s_addc_u32 s4, 0, 0
	s_mul_i32 s4, s4, s3
	v_mad_u64_u32 v[6:7], s[2:3], s2, v4, v[0:1]
	v_add_u32_e32 v7, s4, v7
	v_mov_b32_e32 v0, s7
	v_cmp_gt_i64_e32 vcc, s[6:7], v[6:7]
	s_nop 1
	v_cndmask_b32_e32 v8, v7, v0, vcc
	v_mov_b32_e32 v0, s6
	v_cndmask_b32_e64 v4, 0, 1, vcc
	v_cndmask_b32_e32 v0, v6, v0, vcc
	v_lshl_add_u64 v[6:7], v[6:7], 0, v[4:5]
	v_sub_co_u32_e32 v0, vcc, v0, v6
	v_mov_b32_e32 v6, v1
	s_nop 0
	v_subb_co_u32_e32 v8, vcc, v8, v7, vcc
	v_or_b32_e32 v7, s13, v8
	v_cmp_ne_u64_e32 vcc, 0, v[6:7]
                                        ; implicit-def: $vgpr6_vgpr7
	s_and_saveexec_b64 s[2:3], vcc
	s_xor_b64 s[4:5], exec, s[2:3]
	s_cbranch_execz .LBB9_3
; %bb.2:
	v_cvt_f32_u32_e32 v1, s12
	v_cvt_f32_u32_e32 v6, s13
	s_sub_u32 s8, 0, s12
	s_subb_u32 s9, 0, s13
	v_mov_b32_e32 v11, 0
	v_fmamk_f32 v1, v6, 0x4f800000, v1
	v_rcp_f32_e32 v1, v1
	s_nop 0
	v_mul_f32_e32 v1, 0x5f7ffffc, v1
	v_mul_f32_e32 v6, 0x2f800000, v1
	v_trunc_f32_e32 v6, v6
	v_fmamk_f32 v1, v6, 0xcf800000, v1
	v_cvt_u32_f32_e32 v6, v6
	v_cvt_u32_f32_e32 v1, v1
	v_readfirstlane_b32 s10, v6
	v_readfirstlane_b32 s2, v1
	s_mul_i32 s3, s8, s10
	s_mul_hi_u32 s14, s8, s2
	s_mul_i32 s11, s9, s2
	s_add_i32 s3, s14, s3
	s_mul_i32 s15, s8, s2
	s_add_i32 s3, s3, s11
	s_mul_i32 s14, s2, s3
	s_mul_hi_u32 s16, s2, s15
	s_mul_hi_u32 s11, s2, s3
	s_add_u32 s14, s16, s14
	s_addc_u32 s11, 0, s11
	s_mul_hi_u32 s17, s10, s15
	s_mul_i32 s15, s10, s15
	s_add_u32 s14, s14, s15
	s_mul_hi_u32 s16, s10, s3
	s_addc_u32 s11, s11, s17
	s_addc_u32 s14, s16, 0
	s_mul_i32 s3, s10, s3
	s_add_u32 s3, s11, s3
	s_addc_u32 s11, 0, s14
	s_add_u32 s14, s2, s3
	s_cselect_b64 s[2:3], -1, 0
	s_cmp_lg_u64 s[2:3], 0
	s_addc_u32 s10, s10, s11
	s_mul_i32 s2, s8, s10
	s_mul_hi_u32 s3, s8, s14
	s_add_i32 s2, s3, s2
	s_mul_i32 s9, s9, s14
	s_add_i32 s2, s2, s9
	s_mul_i32 s8, s8, s14
	s_mul_hi_u32 s9, s10, s8
	s_mul_i32 s11, s10, s8
	s_mul_i32 s16, s14, s2
	s_mul_hi_u32 s8, s14, s8
	s_mul_hi_u32 s15, s14, s2
	s_add_u32 s8, s8, s16
	s_addc_u32 s15, 0, s15
	s_add_u32 s8, s8, s11
	s_mul_hi_u32 s3, s10, s2
	s_addc_u32 s8, s15, s9
	s_addc_u32 s3, s3, 0
	s_mul_i32 s2, s10, s2
	s_add_u32 s2, s8, s2
	s_addc_u32 s8, 0, s3
	s_add_u32 s9, s14, s2
	s_cselect_b64 s[2:3], -1, 0
	s_cmp_lg_u64 s[2:3], 0
	s_addc_u32 s8, s10, s8
	v_mad_u64_u32 v[6:7], s[2:3], v0, s8, 0
	v_mul_hi_u32 v10, v0, s9
	v_lshl_add_u64 v[6:7], v[10:11], 0, v[6:7]
	v_mad_u64_u32 v[14:15], s[2:3], v8, s9, 0
	v_add_co_u32_e32 v1, vcc, v6, v14
	v_mad_u64_u32 v[12:13], s[2:3], v8, s8, 0
	s_nop 0
	v_addc_co_u32_e32 v10, vcc, v7, v15, vcc
	s_nop 1
	v_addc_co_u32_e32 v13, vcc, 0, v13, vcc
	v_lshl_add_u64 v[6:7], v[10:11], 0, v[12:13]
	v_mul_lo_u32 v1, s13, v6
	v_mul_lo_u32 v9, s12, v7
	v_mad_u64_u32 v[10:11], s[2:3], s12, v6, 0
	v_add3_u32 v9, v11, v9, v1
	v_sub_u32_e32 v1, v8, v9
	v_mov_b32_e32 v11, s13
	v_sub_co_u32_e32 v12, vcc, v0, v10
	s_nop 1
	v_subb_co_u32_e64 v0, s[2:3], v1, v11, vcc
	v_subrev_co_u32_e64 v1, s[2:3], s12, v12
	v_subb_co_u32_e32 v8, vcc, v8, v9, vcc
	s_nop 0
	v_subbrev_co_u32_e64 v0, s[2:3], 0, v0, s[2:3]
	v_cmp_le_u32_e64 s[2:3], s13, v0
	v_cmp_le_u32_e32 vcc, s13, v8
	s_nop 0
	v_cndmask_b32_e64 v10, 0, -1, s[2:3]
	v_cmp_le_u32_e64 s[2:3], s12, v1
	v_cndmask_b32_e64 v9, 0, -1, vcc
	v_cmp_le_u32_e32 vcc, s12, v12
	v_cndmask_b32_e64 v1, 0, -1, s[2:3]
	v_cmp_eq_u32_e64 s[2:3], s13, v0
	s_nop 1
	v_cndmask_b32_e64 v13, v10, v1, s[2:3]
	v_lshl_add_u64 v[0:1], v[6:7], 0, 2
	v_lshl_add_u64 v[10:11], v[6:7], 0, 1
	v_cmp_ne_u32_e64 s[2:3], 0, v13
	s_nop 1
	v_cndmask_b32_e64 v1, v11, v1, s[2:3]
	v_cndmask_b32_e64 v11, 0, -1, vcc
	v_cmp_eq_u32_e32 vcc, s13, v8
	v_cndmask_b32_e64 v0, v10, v0, s[2:3]
	s_nop 0
	v_cndmask_b32_e32 v8, v9, v11, vcc
	v_cmp_ne_u32_e32 vcc, 0, v8
	s_nop 1
	v_cndmask_b32_e32 v7, v7, v1, vcc
	v_cndmask_b32_e32 v6, v6, v0, vcc
                                        ; implicit-def: $vgpr0
.LBB9_3:
	s_or_saveexec_b64 s[2:3], s[4:5]
	s_load_dword s4, s[0:1], 0x8
	s_load_dwordx4 s[8:11], s[0:1], 0x20
	s_xor_b64 exec, exec, s[2:3]
	s_cbranch_execz .LBB9_5
; %bb.4:
	v_cvt_f32_u32_e32 v1, s12
	s_sub_i32 s5, 0, s12
	v_rcp_iflag_f32_e32 v1, v1
	s_nop 0
	v_mul_f32_e32 v1, 0x4f7ffffe, v1
	v_cvt_u32_f32_e32 v1, v1
	v_mul_lo_u32 v6, s5, v1
	v_mul_hi_u32 v6, v1, v6
	v_add_u32_e32 v1, v1, v6
	v_mul_hi_u32 v1, v0, v1
	v_mul_lo_u32 v6, v1, s12
	v_sub_u32_e32 v0, v0, v6
	v_add_u32_e32 v7, 1, v1
	v_subrev_u32_e32 v6, s12, v0
	v_cmp_le_u32_e32 vcc, s12, v0
	s_nop 1
	v_cndmask_b32_e32 v0, v0, v6, vcc
	v_cndmask_b32_e32 v1, v1, v7, vcc
	v_add_u32_e32 v6, 1, v1
	v_cmp_le_u32_e32 vcc, s12, v0
	v_mov_b32_e32 v7, 0
	s_nop 0
	v_cndmask_b32_e32 v6, v1, v6, vcc
.LBB9_5:
	s_or_b64 exec, exec, s[2:3]
	s_load_dwordx2 s[16:17], s[0:1], 0x10
	s_load_dword s14, s[0:1], 0x18
	s_waitcnt lgkmcnt(0)
	s_ashr_i32 s0, s4, 16
	v_cvt_f32_i32_e32 v0, s0
	s_sext_i32_i16 s0, s4
	v_cvt_f32_i32_e32 v12, s0
	v_lshl_add_u64 v[4:5], v[6:7], 0, v[4:5]
	v_lshl_add_u64 v[14:15], v[4:5], 0, 1
	v_cmp_lt_u64_e32 vcc, 3, v[14:15]
	s_mov_b64 s[0:1], 0
                                        ; implicit-def: $vgpr4_vgpr5
	s_and_saveexec_b64 s[2:3], vcc
	s_xor_b64 s[18:19], exec, s[2:3]
	s_cbranch_execnz .LBB9_8
; %bb.6:
	s_andn2_saveexec_b64 s[2:3], s[18:19]
	s_cbranch_execnz .LBB9_11
.LBB9_7:
	s_or_b64 exec, exec, s[2:3]
	s_and_b64 exec, exec, s[0:1]
	s_cbranch_execnz .LBB9_12
	s_branch .LBB9_18
.LBB9_8:
	v_mad_u64_u32 v[8:9], s[0:1], s12, 3, v[2:3]
	v_mov_b32_e32 v10, v9
	v_mad_u64_u32 v[6:7], s[0:1], s12, 2, v[2:3]
	v_mad_u64_u32 v[4:5], s[0:1], s12, 1, v[2:3]
	v_mad_u64_u32 v[10:11], s[0:1], s13, 3, v[10:11]
	v_lshl_add_u32 v7, s13, 1, v7
	v_add_u32_e32 v5, s13, v5
	v_mov_b32_e32 v9, v10
	v_and_b32_e32 v16, -4, v14
	v_mov_b32_e32 v17, v15
	s_lshl_b64 s[40:41], s[12:13], 2
	s_mul_i32 s0, s13, 6
	s_mul_hi_u32 s1, s12, 6
	v_mov_b64_e32 v[10:11], v[8:9]
	v_mov_b32_e32 v1, v0
	v_mov_b32_e32 v13, v12
	s_mov_b32 s20, s8
	s_mov_b32 s21, s9
	;; [unrolled: 1-line block ×23, first 2 shown]
	s_lshl_b64 s[38:39], s[12:13], 1
	s_add_i32 s49, s1, s0
	s_mul_i32 s48, s12, 6
	v_lshl_add_u64 v[18:19], v[2:3], 1, s[10:11]
	s_lshl_b64 s[52:53], s[12:13], 3
	s_mov_b64 s[50:51], 0
	v_mov_b32_e32 v20, v0
	v_mov_b32_e32 v21, v0
	;; [unrolled: 1-line block ×4, first 2 shown]
	v_mov_b64_e32 v[24:25], v[16:17]
	v_mov_b64_e32 v[8:9], v[6:7]
	;; [unrolled: 1-line block ×4, first 2 shown]
.LBB9_9:                                ; =>This Inner Loop Header: Depth=1
	v_not_b32_e32 v27, v7
	v_not_b32_e32 v26, v6
	;; [unrolled: 1-line block ×8, first 2 shown]
	v_ffbh_u32_e32 v40, v7
	v_ffbh_u32_e32 v41, v5
	;; [unrolled: 1-line block ×3, first 2 shown]
	v_lshl_add_u64 v[28:29], s[16:17], 0, v[28:29]
	v_lshl_add_u64 v[26:27], s[28:29], 0, v[26:27]
	v_ffbh_u32_e32 v43, v9
	v_lshl_add_u64 v[32:33], s[30:31], 0, v[32:33]
	v_lshl_add_u64 v[30:31], s[34:35], 0, v[30:31]
	v_min_u32_e32 v44, 32, v40
	v_min_u32_e32 v45, 32, v41
	;; [unrolled: 1-line block ×3, first 2 shown]
	v_xor_b32_e32 v49, v26, v27
	v_xor_b32_e32 v51, v28, v29
	v_min_u32_e32 v48, 32, v43
	v_ffbh_i32_e32 v50, v27
	v_ffbh_i32_e32 v52, v29
	v_xor_b32_e32 v53, v30, v31
	v_xor_b32_e32 v55, v32, v33
	v_lshlrev_b64 v[40:41], v44, v[6:7]
	v_sub_u32_e32 v57, 32, v44
	v_lshlrev_b64 v[42:43], v45, v[4:5]
	v_sub_u32_e32 v58, 32, v45
	v_lshlrev_b64 v[44:45], v46, v[10:11]
	v_ashrrev_i32_e32 v49, 31, v49
	v_ashrrev_i32_e32 v51, 31, v51
	v_ffbh_i32_e32 v54, v31
	v_ffbh_i32_e32 v56, v33
	v_sub_u32_e32 v59, 32, v46
	v_lshlrev_b64 v[46:47], v48, v[8:9]
	v_add_u32_e32 v50, -1, v50
	v_add_u32_e32 v52, -1, v52
	v_ashrrev_i32_e32 v53, 31, v53
	v_ashrrev_i32_e32 v55, 31, v55
	v_min_u32_e32 v40, 1, v40
	v_min_u32_e32 v42, 1, v42
	;; [unrolled: 1-line block ×3, first 2 shown]
	v_add_u32_e32 v49, 32, v49
	v_add_u32_e32 v51, 32, v51
	v_add_u32_e32 v54, -1, v54
	v_add_u32_e32 v56, -1, v56
	v_min_u32_e32 v46, 1, v46
	v_add_u32_e32 v53, 32, v53
	v_add_u32_e32 v55, 32, v55
	v_or_b32_e32 v40, v41, v40
	v_or_b32_e32 v41, v43, v42
	;; [unrolled: 1-line block ×3, first 2 shown]
	v_min_u32_e32 v44, v50, v49
	v_min_u32_e32 v45, v52, v51
	v_or_b32_e32 v43, v47, v46
	v_min_u32_e32 v46, v54, v53
	v_min_u32_e32 v47, v56, v55
	v_lshlrev_b64 v[26:27], v44, v[26:27]
	v_lshlrev_b64 v[28:29], v45, v[28:29]
	;; [unrolled: 1-line block ×4, first 2 shown]
	v_min_u32_e32 v26, 1, v26
	v_min_u32_e32 v28, 1, v28
	;; [unrolled: 1-line block ×4, first 2 shown]
	v_or_b32_e32 v26, v27, v26
	v_or_b32_e32 v27, v29, v28
	v_cvt_f32_u32_e32 v40, v40
	v_cvt_f32_u32_e32 v41, v41
	v_or_b32_e32 v28, v31, v30
	v_or_b32_e32 v29, v33, v32
	v_cvt_f32_i32_e32 v30, v26
	v_cvt_f32_i32_e32 v32, v27
	v_cvt_f32_u32_e32 v42, v42
	v_cvt_f32_u32_e32 v43, v43
	v_cvt_f32_i32_e32 v33, v28
	v_cvt_f32_i32_e32 v49, v29
	v_sub_u32_e32 v44, 32, v44
	v_sub_u32_e32 v45, 32, v45
	v_ldexp_f32 v27, v40, v57
	v_ldexp_f32 v26, v41, v58
	;; [unrolled: 1-line block ×4, first 2 shown]
	v_sub_u32_e32 v48, 32, v48
	v_sub_u32_e32 v46, 32, v46
	;; [unrolled: 1-line block ×3, first 2 shown]
	v_pk_fma_f32 v[26:27], s[14:15], v[26:27], v[12:13]
	v_pk_fma_f32 v[30:31], s[14:15], v[30:31], v[0:1] neg_lo:[1,0,0] neg_hi:[1,0,0]
	v_cmp_gt_i64_e64 s[4:5], s[20:21], v[4:5]
	s_xor_b32 s1, s37, 0x80000000
	s_xor_b32 s0, s36, 0x80000000
	v_lshl_add_u64 v[24:25], v[24:25], 0, -4
	v_ldexp_f32 v29, v42, v59
	v_ldexp_f32 v28, v43, v48
	v_ldexp_f32 v33, v33, v46
	v_ldexp_f32 v32, v49, v47
	v_cmp_gt_i64_e64 s[2:3], s[22:23], v[6:7]
	v_cndmask_b32_e64 v26, v30, v26, s[4:5]
	v_cmp_eq_u64_e32 vcc, 0, v[24:25]
	v_pk_fma_f32 v[28:29], s[36:37], v[28:29], v[22:23]
	v_pk_fma_f32 v[32:33], s[0:1], v[32:33], v[20:21]
	v_cmp_gt_i64_e64 s[0:1], s[24:25], v[8:9]
	v_cndmask_b32_e64 v27, v31, v27, s[2:3]
	v_cvt_i32_f32_e32 v26, v26
	s_or_b64 s[50:51], vcc, s[50:51]
	v_cmp_gt_i64_e32 vcc, s[26:27], v[10:11]
	v_cndmask_b32_e64 v28, v32, v28, s[0:1]
	v_cvt_i32_f32_e32 v27, v27
	v_cndmask_b32_e32 v29, v33, v29, vcc
	v_cvt_i32_f32_e32 v28, v28
	v_cvt_i32_f32_e32 v29, v29
	v_lshl_add_u64 v[34:35], v[18:19], 0, s[38:39]
	v_lshl_add_u64 v[36:37], v[18:19], 0, s[40:41]
	;; [unrolled: 1-line block ×7, first 2 shown]
	global_store_short v[18:19], v26, off
	global_store_short v[34:35], v27, off
	;; [unrolled: 1-line block ×4, first 2 shown]
	v_lshl_add_u64 v[18:19], v[18:19], 0, s[52:53]
	s_andn2_b64 exec, exec, s[50:51]
	s_cbranch_execnz .LBB9_9
; %bb.10:
	s_or_b64 exec, exec, s[50:51]
	v_mad_u64_u32 v[2:3], s[0:1], v16, s12, v[2:3]
	v_mul_lo_u32 v1, v16, s13
	v_mul_lo_u32 v4, v17, s12
	v_cmp_ne_u64_e32 vcc, v[14:15], v[16:17]
	v_add3_u32 v3, v4, v3, v1
	v_mov_b64_e32 v[4:5], s[38:39]
	s_and_b64 s[0:1], vcc, exec
	s_andn2_saveexec_b64 s[2:3], s[18:19]
	s_cbranch_execz .LBB9_7
.LBB9_11:
	s_lshl_b64 s[4:5], s[12:13], 1
	v_mov_b64_e32 v[4:5], s[4:5]
	s_or_b64 s[0:1], s[0:1], exec
	s_or_b64 exec, exec, s[2:3]
	s_and_b64 exec, exec, s[0:1]
	s_cbranch_execz .LBB9_18
.LBB9_12:
	v_not_b32_e32 v7, v3
	v_not_b32_e32 v6, v2
	v_lshl_add_u64 v[6:7], v[6:7], 0, s[16:17]
	v_lshl_add_u64 v[8:9], v[2:3], 1, s[10:11]
	s_mov_b64 s[0:1], 0
	v_mov_b32_e32 v1, s13
	s_branch .LBB9_14
.LBB9_13:                               ;   in Loop: Header=BB9_14 Depth=1
	s_or_b64 exec, exec, s[2:3]
	v_cvt_i32_f32_e32 v10, v10
	v_subrev_co_u32_e32 v6, vcc, s12, v6
	v_lshl_add_u64 v[2:3], v[2:3], 0, s[12:13]
	s_nop 0
	v_subb_co_u32_e32 v7, vcc, v7, v1, vcc
	v_cmp_le_i64_e32 vcc, s[6:7], v[2:3]
	global_store_short v[8:9], v10, off
	s_or_b64 s[0:1], vcc, s[0:1]
	v_lshl_add_u64 v[8:9], v[8:9], 0, v[4:5]
	s_andn2_b64 exec, exec, s[0:1]
	s_cbranch_execz .LBB9_18
.LBB9_14:                               ; =>This Inner Loop Header: Depth=1
	v_cmp_le_i64_e32 vcc, s[8:9], v[2:3]
                                        ; implicit-def: $vgpr10
	s_and_saveexec_b64 s[2:3], vcc
	s_xor_b64 s[2:3], exec, s[2:3]
	s_cbranch_execz .LBB9_16
; %bb.15:                               ;   in Loop: Header=BB9_14 Depth=1
	v_xor_b32_e32 v11, v6, v7
	v_ffbh_i32_e32 v10, v7
	v_ashrrev_i32_e32 v11, 31, v11
	v_add_u32_e32 v10, -1, v10
	v_add_u32_e32 v11, 32, v11
	v_min_u32_e32 v13, v10, v11
	v_lshlrev_b64 v[10:11], v13, v[6:7]
	v_min_u32_e32 v10, 1, v10
	v_or_b32_e32 v10, v11, v10
	v_cvt_f32_i32_e32 v10, v10
	v_sub_u32_e32 v11, 32, v13
	v_ldexp_f32 v10, v10, v11
	v_fma_f32 v10, -s14, v10, v0
.LBB9_16:                               ;   in Loop: Header=BB9_14 Depth=1
	s_andn2_saveexec_b64 s[2:3], s[2:3]
	s_cbranch_execz .LBB9_13
; %bb.17:                               ;   in Loop: Header=BB9_14 Depth=1
	v_ffbh_u32_e32 v10, v3
	v_min_u32_e32 v13, 32, v10
	v_lshlrev_b64 v[10:11], v13, v[2:3]
	v_min_u32_e32 v10, 1, v10
	v_or_b32_e32 v10, v11, v10
	v_cvt_f32_u32_e32 v10, v10
	v_sub_u32_e32 v11, 32, v13
	v_ldexp_f32 v10, v10, v11
	v_fma_f32 v10, s14, v10, v12
	s_branch .LBB9_13
.LBB9_18:
	s_endpgm
	.section	.rodata,"a",@progbits
	.p2align	6, 0x0
	.amdhsa_kernel _ZN12_GLOBAL__N_141elementwise_kernel_with_index_grid_strideIlZZZN2at6native17linspace_cuda_outERKN3c106ScalarES6_lRNS1_6TensorEENKUlvE_clEvENKUlvE3_clEvEUllE_EEvT_T0_PN15function_traitsISD_E11result_typeE
		.amdhsa_group_segment_fixed_size 0
		.amdhsa_private_segment_fixed_size 0
		.amdhsa_kernarg_size 304
		.amdhsa_user_sgpr_count 2
		.amdhsa_user_sgpr_dispatch_ptr 0
		.amdhsa_user_sgpr_queue_ptr 0
		.amdhsa_user_sgpr_kernarg_segment_ptr 1
		.amdhsa_user_sgpr_dispatch_id 0
		.amdhsa_user_sgpr_kernarg_preload_length 0
		.amdhsa_user_sgpr_kernarg_preload_offset 0
		.amdhsa_user_sgpr_private_segment_size 0
		.amdhsa_uses_dynamic_stack 0
		.amdhsa_enable_private_segment 0
		.amdhsa_system_sgpr_workgroup_id_x 1
		.amdhsa_system_sgpr_workgroup_id_y 0
		.amdhsa_system_sgpr_workgroup_id_z 0
		.amdhsa_system_sgpr_workgroup_info 0
		.amdhsa_system_vgpr_workitem_id 0
		.amdhsa_next_free_vgpr 60
		.amdhsa_next_free_sgpr 54
		.amdhsa_accum_offset 60
		.amdhsa_reserve_vcc 1
		.amdhsa_float_round_mode_32 0
		.amdhsa_float_round_mode_16_64 0
		.amdhsa_float_denorm_mode_32 3
		.amdhsa_float_denorm_mode_16_64 3
		.amdhsa_dx10_clamp 1
		.amdhsa_ieee_mode 1
		.amdhsa_fp16_overflow 0
		.amdhsa_tg_split 0
		.amdhsa_exception_fp_ieee_invalid_op 0
		.amdhsa_exception_fp_denorm_src 0
		.amdhsa_exception_fp_ieee_div_zero 0
		.amdhsa_exception_fp_ieee_overflow 0
		.amdhsa_exception_fp_ieee_underflow 0
		.amdhsa_exception_fp_ieee_inexact 0
		.amdhsa_exception_int_div_zero 0
	.end_amdhsa_kernel
	.section	.text._ZN12_GLOBAL__N_141elementwise_kernel_with_index_grid_strideIlZZZN2at6native17linspace_cuda_outERKN3c106ScalarES6_lRNS1_6TensorEENKUlvE_clEvENKUlvE3_clEvEUllE_EEvT_T0_PN15function_traitsISD_E11result_typeE,"axG",@progbits,_ZN12_GLOBAL__N_141elementwise_kernel_with_index_grid_strideIlZZZN2at6native17linspace_cuda_outERKN3c106ScalarES6_lRNS1_6TensorEENKUlvE_clEvENKUlvE3_clEvEUllE_EEvT_T0_PN15function_traitsISD_E11result_typeE,comdat
.Lfunc_end9:
	.size	_ZN12_GLOBAL__N_141elementwise_kernel_with_index_grid_strideIlZZZN2at6native17linspace_cuda_outERKN3c106ScalarES6_lRNS1_6TensorEENKUlvE_clEvENKUlvE3_clEvEUllE_EEvT_T0_PN15function_traitsISD_E11result_typeE, .Lfunc_end9-_ZN12_GLOBAL__N_141elementwise_kernel_with_index_grid_strideIlZZZN2at6native17linspace_cuda_outERKN3c106ScalarES6_lRNS1_6TensorEENKUlvE_clEvENKUlvE3_clEvEUllE_EEvT_T0_PN15function_traitsISD_E11result_typeE
                                        ; -- End function
	.set _ZN12_GLOBAL__N_141elementwise_kernel_with_index_grid_strideIlZZZN2at6native17linspace_cuda_outERKN3c106ScalarES6_lRNS1_6TensorEENKUlvE_clEvENKUlvE3_clEvEUllE_EEvT_T0_PN15function_traitsISD_E11result_typeE.num_vgpr, 60
	.set _ZN12_GLOBAL__N_141elementwise_kernel_with_index_grid_strideIlZZZN2at6native17linspace_cuda_outERKN3c106ScalarES6_lRNS1_6TensorEENKUlvE_clEvENKUlvE3_clEvEUllE_EEvT_T0_PN15function_traitsISD_E11result_typeE.num_agpr, 0
	.set _ZN12_GLOBAL__N_141elementwise_kernel_with_index_grid_strideIlZZZN2at6native17linspace_cuda_outERKN3c106ScalarES6_lRNS1_6TensorEENKUlvE_clEvENKUlvE3_clEvEUllE_EEvT_T0_PN15function_traitsISD_E11result_typeE.numbered_sgpr, 54
	.set _ZN12_GLOBAL__N_141elementwise_kernel_with_index_grid_strideIlZZZN2at6native17linspace_cuda_outERKN3c106ScalarES6_lRNS1_6TensorEENKUlvE_clEvENKUlvE3_clEvEUllE_EEvT_T0_PN15function_traitsISD_E11result_typeE.num_named_barrier, 0
	.set _ZN12_GLOBAL__N_141elementwise_kernel_with_index_grid_strideIlZZZN2at6native17linspace_cuda_outERKN3c106ScalarES6_lRNS1_6TensorEENKUlvE_clEvENKUlvE3_clEvEUllE_EEvT_T0_PN15function_traitsISD_E11result_typeE.private_seg_size, 0
	.set _ZN12_GLOBAL__N_141elementwise_kernel_with_index_grid_strideIlZZZN2at6native17linspace_cuda_outERKN3c106ScalarES6_lRNS1_6TensorEENKUlvE_clEvENKUlvE3_clEvEUllE_EEvT_T0_PN15function_traitsISD_E11result_typeE.uses_vcc, 1
	.set _ZN12_GLOBAL__N_141elementwise_kernel_with_index_grid_strideIlZZZN2at6native17linspace_cuda_outERKN3c106ScalarES6_lRNS1_6TensorEENKUlvE_clEvENKUlvE3_clEvEUllE_EEvT_T0_PN15function_traitsISD_E11result_typeE.uses_flat_scratch, 0
	.set _ZN12_GLOBAL__N_141elementwise_kernel_with_index_grid_strideIlZZZN2at6native17linspace_cuda_outERKN3c106ScalarES6_lRNS1_6TensorEENKUlvE_clEvENKUlvE3_clEvEUllE_EEvT_T0_PN15function_traitsISD_E11result_typeE.has_dyn_sized_stack, 0
	.set _ZN12_GLOBAL__N_141elementwise_kernel_with_index_grid_strideIlZZZN2at6native17linspace_cuda_outERKN3c106ScalarES6_lRNS1_6TensorEENKUlvE_clEvENKUlvE3_clEvEUllE_EEvT_T0_PN15function_traitsISD_E11result_typeE.has_recursion, 0
	.set _ZN12_GLOBAL__N_141elementwise_kernel_with_index_grid_strideIlZZZN2at6native17linspace_cuda_outERKN3c106ScalarES6_lRNS1_6TensorEENKUlvE_clEvENKUlvE3_clEvEUllE_EEvT_T0_PN15function_traitsISD_E11result_typeE.has_indirect_call, 0
	.section	.AMDGPU.csdata,"",@progbits
; Kernel info:
; codeLenInByte = 2252
; TotalNumSgprs: 60
; NumVgprs: 60
; NumAgprs: 0
; TotalNumVgprs: 60
; ScratchSize: 0
; MemoryBound: 0
; FloatMode: 240
; IeeeMode: 1
; LDSByteSize: 0 bytes/workgroup (compile time only)
; SGPRBlocks: 7
; VGPRBlocks: 7
; NumSGPRsForWavesPerEU: 60
; NumVGPRsForWavesPerEU: 60
; AccumOffset: 60
; Occupancy: 8
; WaveLimiterHint : 0
; COMPUTE_PGM_RSRC2:SCRATCH_EN: 0
; COMPUTE_PGM_RSRC2:USER_SGPR: 2
; COMPUTE_PGM_RSRC2:TRAP_HANDLER: 0
; COMPUTE_PGM_RSRC2:TGID_X_EN: 1
; COMPUTE_PGM_RSRC2:TGID_Y_EN: 0
; COMPUTE_PGM_RSRC2:TGID_Z_EN: 0
; COMPUTE_PGM_RSRC2:TIDIG_COMP_CNT: 0
; COMPUTE_PGM_RSRC3_GFX90A:ACCUM_OFFSET: 14
; COMPUTE_PGM_RSRC3_GFX90A:TG_SPLIT: 0
	.section	.text._ZN12_GLOBAL__N_141elementwise_kernel_with_index_grid_strideIiZZZN2at6native17linspace_cuda_outERKN3c106ScalarES6_lRNS1_6TensorEENKUlvE0_clEvENKUlvE_clEvEUllE_EEvT_T0_PN15function_traitsISD_E11result_typeE,"axG",@progbits,_ZN12_GLOBAL__N_141elementwise_kernel_with_index_grid_strideIiZZZN2at6native17linspace_cuda_outERKN3c106ScalarES6_lRNS1_6TensorEENKUlvE0_clEvENKUlvE_clEvEUllE_EEvT_T0_PN15function_traitsISD_E11result_typeE,comdat
	.globl	_ZN12_GLOBAL__N_141elementwise_kernel_with_index_grid_strideIiZZZN2at6native17linspace_cuda_outERKN3c106ScalarES6_lRNS1_6TensorEENKUlvE0_clEvENKUlvE_clEvEUllE_EEvT_T0_PN15function_traitsISD_E11result_typeE ; -- Begin function _ZN12_GLOBAL__N_141elementwise_kernel_with_index_grid_strideIiZZZN2at6native17linspace_cuda_outERKN3c106ScalarES6_lRNS1_6TensorEENKUlvE0_clEvENKUlvE_clEvEUllE_EEvT_T0_PN15function_traitsISD_E11result_typeE
	.p2align	8
	.type	_ZN12_GLOBAL__N_141elementwise_kernel_with_index_grid_strideIiZZZN2at6native17linspace_cuda_outERKN3c106ScalarES6_lRNS1_6TensorEENKUlvE0_clEvENKUlvE_clEvEUllE_EEvT_T0_PN15function_traitsISD_E11result_typeE,@function
_ZN12_GLOBAL__N_141elementwise_kernel_with_index_grid_strideIiZZZN2at6native17linspace_cuda_outERKN3c106ScalarES6_lRNS1_6TensorEENKUlvE0_clEvENKUlvE_clEvEUllE_EEvT_T0_PN15function_traitsISD_E11result_typeE: ; @_ZN12_GLOBAL__N_141elementwise_kernel_with_index_grid_strideIiZZZN2at6native17linspace_cuda_outERKN3c106ScalarES6_lRNS1_6TensorEENKUlvE0_clEvENKUlvE_clEvEUllE_EEvT_T0_PN15function_traitsISD_E11result_typeE
; %bb.0:
	s_load_dword s3, s[0:1], 0x44
	s_load_dword s18, s[0:1], 0x0
	s_add_u32 s16, s0, 56
	s_addc_u32 s17, s1, 0
	s_waitcnt lgkmcnt(0)
	s_and_b32 s3, s3, 0xffff
	s_mul_i32 s2, s2, s3
	v_add_u32_e32 v0, s2, v0
	v_cmp_gt_i32_e32 vcc, s18, v0
	s_and_saveexec_b64 s[4:5], vcc
	s_cbranch_execz .LBB10_7
; %bb.1:
	s_load_dwordx4 s[12:15], s[0:1], 0x28
	s_load_dword s2, s[16:17], 0x0
	s_load_dwordx8 s[4:11], s[0:1], 0x8
	v_ashrrev_i32_e32 v1, 31, v0
	v_not_b32_e32 v3, v1
	s_waitcnt lgkmcnt(0)
	v_mov_b32_e32 v4, s14
	s_mul_i32 s0, s2, s3
	v_mov_b32_e32 v5, s15
	v_not_b32_e32 v2, v0
	s_ashr_i32 s1, s0, 31
	v_lshl_add_u64 v[2:3], v[2:3], 0, s[8:9]
	v_lshl_add_u64 v[4:5], v[0:1], 3, v[4:5]
	s_lshl_b64 s[2:3], s[0:1], 3
	s_mov_b64 s[8:9], 0
	v_mov_b32_e32 v8, s1
	s_branch .LBB10_3
.LBB10_2:                               ;   in Loop: Header=BB10_3 Depth=1
	s_or_b64 exec, exec, s[14:15]
	v_subrev_co_u32_e32 v2, vcc, s0, v2
	v_lshl_add_u64 v[0:1], v[0:1], 0, s[0:1]
	s_nop 0
	v_subb_co_u32_e32 v3, vcc, v3, v8, vcc
	v_cmp_le_i32_e32 vcc, s18, v0
	global_store_dwordx2 v[4:5], v[6:7], off
	s_or_b64 s[8:9], vcc, s[8:9]
	v_lshl_add_u64 v[4:5], v[4:5], 0, s[2:3]
	s_andn2_b64 exec, exec, s[8:9]
	s_cbranch_execz .LBB10_7
.LBB10_3:                               ; =>This Inner Loop Header: Depth=1
	v_cmp_le_i64_e32 vcc, s[12:13], v[0:1]
                                        ; implicit-def: $vgpr6_vgpr7
	s_and_saveexec_b64 s[14:15], vcc
	s_xor_b64 s[14:15], exec, s[14:15]
; %bb.4:                                ;   in Loop: Header=BB10_3 Depth=1
	v_cvt_f64_i32_e32 v[6:7], v3
	v_ldexp_f64 v[6:7], v[6:7], 32
	v_cvt_f64_u32_e32 v[10:11], v2
	v_add_f64 v[6:7], v[6:7], v[10:11]
	v_mov_b64_e32 v[10:11], s[6:7]
	v_fma_f64 v[6:7], -s[10:11], v[6:7], v[10:11]
; %bb.5:                                ;   in Loop: Header=BB10_3 Depth=1
	s_andn2_saveexec_b64 s[14:15], s[14:15]
	s_cbranch_execz .LBB10_2
; %bb.6:                                ;   in Loop: Header=BB10_3 Depth=1
	v_cvt_f64_i32_e32 v[6:7], v0
	v_mov_b64_e32 v[10:11], s[4:5]
	v_fma_f64 v[6:7], s[10:11], v[6:7], v[10:11]
	s_branch .LBB10_2
.LBB10_7:
	s_endpgm
	.section	.rodata,"a",@progbits
	.p2align	6, 0x0
	.amdhsa_kernel _ZN12_GLOBAL__N_141elementwise_kernel_with_index_grid_strideIiZZZN2at6native17linspace_cuda_outERKN3c106ScalarES6_lRNS1_6TensorEENKUlvE0_clEvENKUlvE_clEvEUllE_EEvT_T0_PN15function_traitsISD_E11result_typeE
		.amdhsa_group_segment_fixed_size 0
		.amdhsa_private_segment_fixed_size 0
		.amdhsa_kernarg_size 312
		.amdhsa_user_sgpr_count 2
		.amdhsa_user_sgpr_dispatch_ptr 0
		.amdhsa_user_sgpr_queue_ptr 0
		.amdhsa_user_sgpr_kernarg_segment_ptr 1
		.amdhsa_user_sgpr_dispatch_id 0
		.amdhsa_user_sgpr_kernarg_preload_length 0
		.amdhsa_user_sgpr_kernarg_preload_offset 0
		.amdhsa_user_sgpr_private_segment_size 0
		.amdhsa_uses_dynamic_stack 0
		.amdhsa_enable_private_segment 0
		.amdhsa_system_sgpr_workgroup_id_x 1
		.amdhsa_system_sgpr_workgroup_id_y 0
		.amdhsa_system_sgpr_workgroup_id_z 0
		.amdhsa_system_sgpr_workgroup_info 0
		.amdhsa_system_vgpr_workitem_id 0
		.amdhsa_next_free_vgpr 12
		.amdhsa_next_free_sgpr 19
		.amdhsa_accum_offset 12
		.amdhsa_reserve_vcc 1
		.amdhsa_float_round_mode_32 0
		.amdhsa_float_round_mode_16_64 0
		.amdhsa_float_denorm_mode_32 3
		.amdhsa_float_denorm_mode_16_64 3
		.amdhsa_dx10_clamp 1
		.amdhsa_ieee_mode 1
		.amdhsa_fp16_overflow 0
		.amdhsa_tg_split 0
		.amdhsa_exception_fp_ieee_invalid_op 0
		.amdhsa_exception_fp_denorm_src 0
		.amdhsa_exception_fp_ieee_div_zero 0
		.amdhsa_exception_fp_ieee_overflow 0
		.amdhsa_exception_fp_ieee_underflow 0
		.amdhsa_exception_fp_ieee_inexact 0
		.amdhsa_exception_int_div_zero 0
	.end_amdhsa_kernel
	.section	.text._ZN12_GLOBAL__N_141elementwise_kernel_with_index_grid_strideIiZZZN2at6native17linspace_cuda_outERKN3c106ScalarES6_lRNS1_6TensorEENKUlvE0_clEvENKUlvE_clEvEUllE_EEvT_T0_PN15function_traitsISD_E11result_typeE,"axG",@progbits,_ZN12_GLOBAL__N_141elementwise_kernel_with_index_grid_strideIiZZZN2at6native17linspace_cuda_outERKN3c106ScalarES6_lRNS1_6TensorEENKUlvE0_clEvENKUlvE_clEvEUllE_EEvT_T0_PN15function_traitsISD_E11result_typeE,comdat
.Lfunc_end10:
	.size	_ZN12_GLOBAL__N_141elementwise_kernel_with_index_grid_strideIiZZZN2at6native17linspace_cuda_outERKN3c106ScalarES6_lRNS1_6TensorEENKUlvE0_clEvENKUlvE_clEvEUllE_EEvT_T0_PN15function_traitsISD_E11result_typeE, .Lfunc_end10-_ZN12_GLOBAL__N_141elementwise_kernel_with_index_grid_strideIiZZZN2at6native17linspace_cuda_outERKN3c106ScalarES6_lRNS1_6TensorEENKUlvE0_clEvENKUlvE_clEvEUllE_EEvT_T0_PN15function_traitsISD_E11result_typeE
                                        ; -- End function
	.set _ZN12_GLOBAL__N_141elementwise_kernel_with_index_grid_strideIiZZZN2at6native17linspace_cuda_outERKN3c106ScalarES6_lRNS1_6TensorEENKUlvE0_clEvENKUlvE_clEvEUllE_EEvT_T0_PN15function_traitsISD_E11result_typeE.num_vgpr, 12
	.set _ZN12_GLOBAL__N_141elementwise_kernel_with_index_grid_strideIiZZZN2at6native17linspace_cuda_outERKN3c106ScalarES6_lRNS1_6TensorEENKUlvE0_clEvENKUlvE_clEvEUllE_EEvT_T0_PN15function_traitsISD_E11result_typeE.num_agpr, 0
	.set _ZN12_GLOBAL__N_141elementwise_kernel_with_index_grid_strideIiZZZN2at6native17linspace_cuda_outERKN3c106ScalarES6_lRNS1_6TensorEENKUlvE0_clEvENKUlvE_clEvEUllE_EEvT_T0_PN15function_traitsISD_E11result_typeE.numbered_sgpr, 19
	.set _ZN12_GLOBAL__N_141elementwise_kernel_with_index_grid_strideIiZZZN2at6native17linspace_cuda_outERKN3c106ScalarES6_lRNS1_6TensorEENKUlvE0_clEvENKUlvE_clEvEUllE_EEvT_T0_PN15function_traitsISD_E11result_typeE.num_named_barrier, 0
	.set _ZN12_GLOBAL__N_141elementwise_kernel_with_index_grid_strideIiZZZN2at6native17linspace_cuda_outERKN3c106ScalarES6_lRNS1_6TensorEENKUlvE0_clEvENKUlvE_clEvEUllE_EEvT_T0_PN15function_traitsISD_E11result_typeE.private_seg_size, 0
	.set _ZN12_GLOBAL__N_141elementwise_kernel_with_index_grid_strideIiZZZN2at6native17linspace_cuda_outERKN3c106ScalarES6_lRNS1_6TensorEENKUlvE0_clEvENKUlvE_clEvEUllE_EEvT_T0_PN15function_traitsISD_E11result_typeE.uses_vcc, 1
	.set _ZN12_GLOBAL__N_141elementwise_kernel_with_index_grid_strideIiZZZN2at6native17linspace_cuda_outERKN3c106ScalarES6_lRNS1_6TensorEENKUlvE0_clEvENKUlvE_clEvEUllE_EEvT_T0_PN15function_traitsISD_E11result_typeE.uses_flat_scratch, 0
	.set _ZN12_GLOBAL__N_141elementwise_kernel_with_index_grid_strideIiZZZN2at6native17linspace_cuda_outERKN3c106ScalarES6_lRNS1_6TensorEENKUlvE0_clEvENKUlvE_clEvEUllE_EEvT_T0_PN15function_traitsISD_E11result_typeE.has_dyn_sized_stack, 0
	.set _ZN12_GLOBAL__N_141elementwise_kernel_with_index_grid_strideIiZZZN2at6native17linspace_cuda_outERKN3c106ScalarES6_lRNS1_6TensorEENKUlvE0_clEvENKUlvE_clEvEUllE_EEvT_T0_PN15function_traitsISD_E11result_typeE.has_recursion, 0
	.set _ZN12_GLOBAL__N_141elementwise_kernel_with_index_grid_strideIiZZZN2at6native17linspace_cuda_outERKN3c106ScalarES6_lRNS1_6TensorEENKUlvE0_clEvENKUlvE_clEvEUllE_EEvT_T0_PN15function_traitsISD_E11result_typeE.has_indirect_call, 0
	.section	.AMDGPU.csdata,"",@progbits
; Kernel info:
; codeLenInByte = 280
; TotalNumSgprs: 25
; NumVgprs: 12
; NumAgprs: 0
; TotalNumVgprs: 12
; ScratchSize: 0
; MemoryBound: 0
; FloatMode: 240
; IeeeMode: 1
; LDSByteSize: 0 bytes/workgroup (compile time only)
; SGPRBlocks: 3
; VGPRBlocks: 1
; NumSGPRsForWavesPerEU: 25
; NumVGPRsForWavesPerEU: 12
; AccumOffset: 12
; Occupancy: 8
; WaveLimiterHint : 0
; COMPUTE_PGM_RSRC2:SCRATCH_EN: 0
; COMPUTE_PGM_RSRC2:USER_SGPR: 2
; COMPUTE_PGM_RSRC2:TRAP_HANDLER: 0
; COMPUTE_PGM_RSRC2:TGID_X_EN: 1
; COMPUTE_PGM_RSRC2:TGID_Y_EN: 0
; COMPUTE_PGM_RSRC2:TGID_Z_EN: 0
; COMPUTE_PGM_RSRC2:TIDIG_COMP_CNT: 0
; COMPUTE_PGM_RSRC3_GFX90A:ACCUM_OFFSET: 2
; COMPUTE_PGM_RSRC3_GFX90A:TG_SPLIT: 0
	.section	.text._ZN12_GLOBAL__N_141elementwise_kernel_with_index_grid_strideIlZZZN2at6native17linspace_cuda_outERKN3c106ScalarES6_lRNS1_6TensorEENKUlvE0_clEvENKUlvE_clEvEUllE_EEvT_T0_PN15function_traitsISD_E11result_typeE,"axG",@progbits,_ZN12_GLOBAL__N_141elementwise_kernel_with_index_grid_strideIlZZZN2at6native17linspace_cuda_outERKN3c106ScalarES6_lRNS1_6TensorEENKUlvE0_clEvENKUlvE_clEvEUllE_EEvT_T0_PN15function_traitsISD_E11result_typeE,comdat
	.globl	_ZN12_GLOBAL__N_141elementwise_kernel_with_index_grid_strideIlZZZN2at6native17linspace_cuda_outERKN3c106ScalarES6_lRNS1_6TensorEENKUlvE0_clEvENKUlvE_clEvEUllE_EEvT_T0_PN15function_traitsISD_E11result_typeE ; -- Begin function _ZN12_GLOBAL__N_141elementwise_kernel_with_index_grid_strideIlZZZN2at6native17linspace_cuda_outERKN3c106ScalarES6_lRNS1_6TensorEENKUlvE0_clEvENKUlvE_clEvEUllE_EEvT_T0_PN15function_traitsISD_E11result_typeE
	.p2align	8
	.type	_ZN12_GLOBAL__N_141elementwise_kernel_with_index_grid_strideIlZZZN2at6native17linspace_cuda_outERKN3c106ScalarES6_lRNS1_6TensorEENKUlvE0_clEvENKUlvE_clEvEUllE_EEvT_T0_PN15function_traitsISD_E11result_typeE,@function
_ZN12_GLOBAL__N_141elementwise_kernel_with_index_grid_strideIlZZZN2at6native17linspace_cuda_outERKN3c106ScalarES6_lRNS1_6TensorEENKUlvE0_clEvENKUlvE_clEvEUllE_EEvT_T0_PN15function_traitsISD_E11result_typeE: ; @_ZN12_GLOBAL__N_141elementwise_kernel_with_index_grid_strideIlZZZN2at6native17linspace_cuda_outERKN3c106ScalarES6_lRNS1_6TensorEENKUlvE0_clEvENKUlvE_clEvEUllE_EEvT_T0_PN15function_traitsISD_E11result_typeE
; %bb.0:
	s_load_dword s3, s[0:1], 0x44
	s_load_dwordx8 s[4:11], s[0:1], 0x0
	s_add_u32 s20, s0, 56
	s_addc_u32 s21, s1, 0
	v_mov_b32_e32 v1, 0
	s_waitcnt lgkmcnt(0)
	s_and_b32 s3, s3, 0xffff
	v_mov_b32_e32 v2, s2
	v_mad_u64_u32 v[0:1], s[12:13], s3, v2, v[0:1]
	v_cmp_gt_i64_e32 vcc, s[4:5], v[0:1]
	s_and_saveexec_b64 s[12:13], vcc
	s_cbranch_execz .LBB11_7
; %bb.1:
	s_load_dwordx8 s[12:19], s[0:1], 0x20
	s_load_dword s2, s[20:21], 0x0
	v_not_b32_e32 v3, v1
	v_not_b32_e32 v2, v0
	v_lshl_add_u64 v[2:3], v[2:3], 0, s[10:11]
	s_waitcnt lgkmcnt(0)
	v_mov_b32_e32 v4, s16
	v_mov_b32_e32 v5, s17
	s_mul_hi_u32 s1, s3, s2
	s_mul_i32 s0, s3, s2
	v_lshl_add_u64 v[4:5], v[0:1], 3, v[4:5]
	s_lshl_b64 s[2:3], s[0:1], 3
	s_mov_b64 s[10:11], 0
	v_mov_b32_e32 v8, s1
	s_branch .LBB11_3
.LBB11_2:                               ;   in Loop: Header=BB11_3 Depth=1
	s_or_b64 exec, exec, s[16:17]
	v_subrev_co_u32_e32 v2, vcc, s0, v2
	v_lshl_add_u64 v[0:1], v[0:1], 0, s[0:1]
	s_nop 0
	v_subb_co_u32_e32 v3, vcc, v3, v8, vcc
	v_cmp_le_i64_e32 vcc, s[4:5], v[0:1]
	global_store_dwordx2 v[4:5], v[6:7], off
	s_or_b64 s[10:11], vcc, s[10:11]
	v_lshl_add_u64 v[4:5], v[4:5], 0, s[2:3]
	s_andn2_b64 exec, exec, s[10:11]
	s_cbranch_execz .LBB11_7
.LBB11_3:                               ; =>This Inner Loop Header: Depth=1
	v_cmp_le_i64_e32 vcc, s[14:15], v[0:1]
                                        ; implicit-def: $vgpr6_vgpr7
	s_and_saveexec_b64 s[16:17], vcc
	s_xor_b64 s[16:17], exec, s[16:17]
; %bb.4:                                ;   in Loop: Header=BB11_3 Depth=1
	v_cvt_f64_i32_e32 v[6:7], v3
	v_ldexp_f64 v[6:7], v[6:7], 32
	v_cvt_f64_u32_e32 v[10:11], v2
	v_add_f64 v[6:7], v[6:7], v[10:11]
	v_mov_b64_e32 v[10:11], s[8:9]
	v_fma_f64 v[6:7], -s[12:13], v[6:7], v[10:11]
; %bb.5:                                ;   in Loop: Header=BB11_3 Depth=1
	s_andn2_saveexec_b64 s[16:17], s[16:17]
	s_cbranch_execz .LBB11_2
; %bb.6:                                ;   in Loop: Header=BB11_3 Depth=1
	v_cvt_f64_u32_e32 v[6:7], v1
	v_ldexp_f64 v[6:7], v[6:7], 32
	v_cvt_f64_u32_e32 v[10:11], v0
	v_add_f64 v[6:7], v[6:7], v[10:11]
	v_mov_b64_e32 v[10:11], s[6:7]
	v_fma_f64 v[6:7], s[12:13], v[6:7], v[10:11]
	s_branch .LBB11_2
.LBB11_7:
	s_endpgm
	.section	.rodata,"a",@progbits
	.p2align	6, 0x0
	.amdhsa_kernel _ZN12_GLOBAL__N_141elementwise_kernel_with_index_grid_strideIlZZZN2at6native17linspace_cuda_outERKN3c106ScalarES6_lRNS1_6TensorEENKUlvE0_clEvENKUlvE_clEvEUllE_EEvT_T0_PN15function_traitsISD_E11result_typeE
		.amdhsa_group_segment_fixed_size 0
		.amdhsa_private_segment_fixed_size 0
		.amdhsa_kernarg_size 312
		.amdhsa_user_sgpr_count 2
		.amdhsa_user_sgpr_dispatch_ptr 0
		.amdhsa_user_sgpr_queue_ptr 0
		.amdhsa_user_sgpr_kernarg_segment_ptr 1
		.amdhsa_user_sgpr_dispatch_id 0
		.amdhsa_user_sgpr_kernarg_preload_length 0
		.amdhsa_user_sgpr_kernarg_preload_offset 0
		.amdhsa_user_sgpr_private_segment_size 0
		.amdhsa_uses_dynamic_stack 0
		.amdhsa_enable_private_segment 0
		.amdhsa_system_sgpr_workgroup_id_x 1
		.amdhsa_system_sgpr_workgroup_id_y 0
		.amdhsa_system_sgpr_workgroup_id_z 0
		.amdhsa_system_sgpr_workgroup_info 0
		.amdhsa_system_vgpr_workitem_id 0
		.amdhsa_next_free_vgpr 12
		.amdhsa_next_free_sgpr 22
		.amdhsa_accum_offset 12
		.amdhsa_reserve_vcc 1
		.amdhsa_float_round_mode_32 0
		.amdhsa_float_round_mode_16_64 0
		.amdhsa_float_denorm_mode_32 3
		.amdhsa_float_denorm_mode_16_64 3
		.amdhsa_dx10_clamp 1
		.amdhsa_ieee_mode 1
		.amdhsa_fp16_overflow 0
		.amdhsa_tg_split 0
		.amdhsa_exception_fp_ieee_invalid_op 0
		.amdhsa_exception_fp_denorm_src 0
		.amdhsa_exception_fp_ieee_div_zero 0
		.amdhsa_exception_fp_ieee_overflow 0
		.amdhsa_exception_fp_ieee_underflow 0
		.amdhsa_exception_fp_ieee_inexact 0
		.amdhsa_exception_int_div_zero 0
	.end_amdhsa_kernel
	.section	.text._ZN12_GLOBAL__N_141elementwise_kernel_with_index_grid_strideIlZZZN2at6native17linspace_cuda_outERKN3c106ScalarES6_lRNS1_6TensorEENKUlvE0_clEvENKUlvE_clEvEUllE_EEvT_T0_PN15function_traitsISD_E11result_typeE,"axG",@progbits,_ZN12_GLOBAL__N_141elementwise_kernel_with_index_grid_strideIlZZZN2at6native17linspace_cuda_outERKN3c106ScalarES6_lRNS1_6TensorEENKUlvE0_clEvENKUlvE_clEvEUllE_EEvT_T0_PN15function_traitsISD_E11result_typeE,comdat
.Lfunc_end11:
	.size	_ZN12_GLOBAL__N_141elementwise_kernel_with_index_grid_strideIlZZZN2at6native17linspace_cuda_outERKN3c106ScalarES6_lRNS1_6TensorEENKUlvE0_clEvENKUlvE_clEvEUllE_EEvT_T0_PN15function_traitsISD_E11result_typeE, .Lfunc_end11-_ZN12_GLOBAL__N_141elementwise_kernel_with_index_grid_strideIlZZZN2at6native17linspace_cuda_outERKN3c106ScalarES6_lRNS1_6TensorEENKUlvE0_clEvENKUlvE_clEvEUllE_EEvT_T0_PN15function_traitsISD_E11result_typeE
                                        ; -- End function
	.set _ZN12_GLOBAL__N_141elementwise_kernel_with_index_grid_strideIlZZZN2at6native17linspace_cuda_outERKN3c106ScalarES6_lRNS1_6TensorEENKUlvE0_clEvENKUlvE_clEvEUllE_EEvT_T0_PN15function_traitsISD_E11result_typeE.num_vgpr, 12
	.set _ZN12_GLOBAL__N_141elementwise_kernel_with_index_grid_strideIlZZZN2at6native17linspace_cuda_outERKN3c106ScalarES6_lRNS1_6TensorEENKUlvE0_clEvENKUlvE_clEvEUllE_EEvT_T0_PN15function_traitsISD_E11result_typeE.num_agpr, 0
	.set _ZN12_GLOBAL__N_141elementwise_kernel_with_index_grid_strideIlZZZN2at6native17linspace_cuda_outERKN3c106ScalarES6_lRNS1_6TensorEENKUlvE0_clEvENKUlvE_clEvEUllE_EEvT_T0_PN15function_traitsISD_E11result_typeE.numbered_sgpr, 22
	.set _ZN12_GLOBAL__N_141elementwise_kernel_with_index_grid_strideIlZZZN2at6native17linspace_cuda_outERKN3c106ScalarES6_lRNS1_6TensorEENKUlvE0_clEvENKUlvE_clEvEUllE_EEvT_T0_PN15function_traitsISD_E11result_typeE.num_named_barrier, 0
	.set _ZN12_GLOBAL__N_141elementwise_kernel_with_index_grid_strideIlZZZN2at6native17linspace_cuda_outERKN3c106ScalarES6_lRNS1_6TensorEENKUlvE0_clEvENKUlvE_clEvEUllE_EEvT_T0_PN15function_traitsISD_E11result_typeE.private_seg_size, 0
	.set _ZN12_GLOBAL__N_141elementwise_kernel_with_index_grid_strideIlZZZN2at6native17linspace_cuda_outERKN3c106ScalarES6_lRNS1_6TensorEENKUlvE0_clEvENKUlvE_clEvEUllE_EEvT_T0_PN15function_traitsISD_E11result_typeE.uses_vcc, 1
	.set _ZN12_GLOBAL__N_141elementwise_kernel_with_index_grid_strideIlZZZN2at6native17linspace_cuda_outERKN3c106ScalarES6_lRNS1_6TensorEENKUlvE0_clEvENKUlvE_clEvEUllE_EEvT_T0_PN15function_traitsISD_E11result_typeE.uses_flat_scratch, 0
	.set _ZN12_GLOBAL__N_141elementwise_kernel_with_index_grid_strideIlZZZN2at6native17linspace_cuda_outERKN3c106ScalarES6_lRNS1_6TensorEENKUlvE0_clEvENKUlvE_clEvEUllE_EEvT_T0_PN15function_traitsISD_E11result_typeE.has_dyn_sized_stack, 0
	.set _ZN12_GLOBAL__N_141elementwise_kernel_with_index_grid_strideIlZZZN2at6native17linspace_cuda_outERKN3c106ScalarES6_lRNS1_6TensorEENKUlvE0_clEvENKUlvE_clEvEUllE_EEvT_T0_PN15function_traitsISD_E11result_typeE.has_recursion, 0
	.set _ZN12_GLOBAL__N_141elementwise_kernel_with_index_grid_strideIlZZZN2at6native17linspace_cuda_outERKN3c106ScalarES6_lRNS1_6TensorEENKUlvE0_clEvENKUlvE_clEvEUllE_EEvT_T0_PN15function_traitsISD_E11result_typeE.has_indirect_call, 0
	.section	.AMDGPU.csdata,"",@progbits
; Kernel info:
; codeLenInByte = 296
; TotalNumSgprs: 28
; NumVgprs: 12
; NumAgprs: 0
; TotalNumVgprs: 12
; ScratchSize: 0
; MemoryBound: 0
; FloatMode: 240
; IeeeMode: 1
; LDSByteSize: 0 bytes/workgroup (compile time only)
; SGPRBlocks: 3
; VGPRBlocks: 1
; NumSGPRsForWavesPerEU: 28
; NumVGPRsForWavesPerEU: 12
; AccumOffset: 12
; Occupancy: 8
; WaveLimiterHint : 0
; COMPUTE_PGM_RSRC2:SCRATCH_EN: 0
; COMPUTE_PGM_RSRC2:USER_SGPR: 2
; COMPUTE_PGM_RSRC2:TRAP_HANDLER: 0
; COMPUTE_PGM_RSRC2:TGID_X_EN: 1
; COMPUTE_PGM_RSRC2:TGID_Y_EN: 0
; COMPUTE_PGM_RSRC2:TGID_Z_EN: 0
; COMPUTE_PGM_RSRC2:TIDIG_COMP_CNT: 0
; COMPUTE_PGM_RSRC3_GFX90A:ACCUM_OFFSET: 2
; COMPUTE_PGM_RSRC3_GFX90A:TG_SPLIT: 0
	.section	.text._ZN12_GLOBAL__N_141elementwise_kernel_with_index_grid_strideIiZZZN2at6native17linspace_cuda_outERKN3c106ScalarES6_lRNS1_6TensorEENKUlvE0_clEvENKUlvE0_clEvEUllE_EEvT_T0_PN15function_traitsISD_E11result_typeE,"axG",@progbits,_ZN12_GLOBAL__N_141elementwise_kernel_with_index_grid_strideIiZZZN2at6native17linspace_cuda_outERKN3c106ScalarES6_lRNS1_6TensorEENKUlvE0_clEvENKUlvE0_clEvEUllE_EEvT_T0_PN15function_traitsISD_E11result_typeE,comdat
	.globl	_ZN12_GLOBAL__N_141elementwise_kernel_with_index_grid_strideIiZZZN2at6native17linspace_cuda_outERKN3c106ScalarES6_lRNS1_6TensorEENKUlvE0_clEvENKUlvE0_clEvEUllE_EEvT_T0_PN15function_traitsISD_E11result_typeE ; -- Begin function _ZN12_GLOBAL__N_141elementwise_kernel_with_index_grid_strideIiZZZN2at6native17linspace_cuda_outERKN3c106ScalarES6_lRNS1_6TensorEENKUlvE0_clEvENKUlvE0_clEvEUllE_EEvT_T0_PN15function_traitsISD_E11result_typeE
	.p2align	8
	.type	_ZN12_GLOBAL__N_141elementwise_kernel_with_index_grid_strideIiZZZN2at6native17linspace_cuda_outERKN3c106ScalarES6_lRNS1_6TensorEENKUlvE0_clEvENKUlvE0_clEvEUllE_EEvT_T0_PN15function_traitsISD_E11result_typeE,@function
_ZN12_GLOBAL__N_141elementwise_kernel_with_index_grid_strideIiZZZN2at6native17linspace_cuda_outERKN3c106ScalarES6_lRNS1_6TensorEENKUlvE0_clEvENKUlvE0_clEvEUllE_EEvT_T0_PN15function_traitsISD_E11result_typeE: ; @_ZN12_GLOBAL__N_141elementwise_kernel_with_index_grid_strideIiZZZN2at6native17linspace_cuda_outERKN3c106ScalarES6_lRNS1_6TensorEENKUlvE0_clEvENKUlvE0_clEvEUllE_EEvT_T0_PN15function_traitsISD_E11result_typeE
; %bb.0:
	s_load_dword s3, s[0:1], 0x3c
	s_load_dword s26, s[0:1], 0x0
	s_add_u32 s14, s0, 48
	s_addc_u32 s15, s1, 0
	s_waitcnt lgkmcnt(0)
	s_and_b32 s3, s3, 0xffff
	s_mul_i32 s4, s2, s3
	v_add_u32_e32 v2, s4, v0
	v_cmp_gt_i32_e32 vcc, s26, v2
	s_and_saveexec_b64 s[4:5], vcc
	s_cbranch_execz .LBB12_12
; %bb.1:
	s_load_dword s13, s[14:15], 0x0
	s_load_dwordx4 s[4:7], s[0:1], 0x8
	s_load_dword s12, s[0:1], 0x18
	s_load_dwordx4 s[8:11], s[0:1], 0x20
	s_waitcnt lgkmcnt(0)
	s_mul_i32 s14, s13, s3
	v_cvt_f32_u32_e32 v1, s14
	s_add_i32 s0, s2, s13
	s_mul_i32 s0, s0, s3
	s_sub_i32 s2, 0, s14
	v_rcp_iflag_f32_e32 v1, v1
	v_add_u32_e32 v3, s0, v0
	v_mov_b32_e32 v4, s0
	v_max_i32_e32 v5, s26, v3
	v_mul_f32_e32 v1, 0x4f7ffffe, v1
	v_cvt_u32_f32_e32 v1, v1
	v_cmp_gt_i32_e32 vcc, s26, v3
	v_mul_lo_u32 v3, s2, v1
	s_nop 0
	v_addc_co_u32_e64 v0, s[0:1], v0, v4, vcc
	v_mul_hi_u32 v3, v1, v3
	v_sub_u32_e32 v0, v5, v0
	v_add_u32_e32 v1, v1, v3
	v_mul_hi_u32 v1, v0, v1
	v_mul_lo_u32 v3, v1, s14
	v_sub_u32_e32 v0, v0, v3
	v_add_u32_e32 v3, 1, v1
	v_cmp_le_u32_e64 s[0:1], s14, v0
	s_nop 1
	v_cndmask_b32_e64 v1, v1, v3, s[0:1]
	v_subrev_u32_e32 v3, s14, v0
	v_cndmask_b32_e64 v0, v0, v3, s[0:1]
	v_add_u32_e32 v3, 1, v1
	v_cmp_le_u32_e64 s[0:1], s14, v0
	s_nop 1
	v_cndmask_b32_e64 v0, v1, v3, s[0:1]
	v_addc_co_u32_e32 v8, vcc, 1, v0, vcc
	v_cmp_lt_u32_e32 vcc, 1, v8
	s_mov_b64 s[0:1], -1
	s_and_saveexec_b64 s[2:3], vcc
	s_cbranch_execz .LBB12_5
; %bb.2:
	v_and_b32_e32 v9, -2, v8
	s_mov_b32 s0, s5
	s_mov_b32 s1, s5
	;; [unrolled: 1-line block ×4, first 2 shown]
	v_add_u32_e32 v3, s14, v2
	s_lshl_b32 s15, s14, 1
	s_mov_b32 s16, s8
	s_mov_b32 s17, s9
	;; [unrolled: 1-line block ×10, first 2 shown]
	s_mov_b64 s[24:25], 0
	v_mov_b64_e32 v[0:1], s[0:1]
	v_mov_b64_e32 v[4:5], s[28:29]
	v_mov_b32_e32 v10, v9
	v_mov_b64_e32 v[6:7], v[2:3]
.LBB12_3:                               ; =>This Inner Loop Header: Depth=1
	v_xor_b32_e32 v16, -1, v7
	v_xor_b32_e32 v18, -1, v6
	v_ashrrev_i32_e32 v17, 31, v16
	v_ashrrev_i32_e32 v19, 31, v18
	v_lshl_add_u64 v[18:19], s[20:21], 0, v[18:19]
	v_lshl_add_u64 v[16:17], s[22:23], 0, v[16:17]
	v_xor_b32_e32 v3, v16, v17
	v_xor_b32_e32 v26, v18, v19
	v_ffbh_i32_e32 v11, v17
	v_ffbh_i32_e32 v27, v19
	v_ashrrev_i32_e32 v3, 31, v3
	v_ashrrev_i32_e32 v26, 31, v26
	v_add_u32_e32 v11, -1, v11
	v_add_u32_e32 v27, -1, v27
	v_add_u32_e32 v3, 32, v3
	v_add_u32_e32 v26, 32, v26
	v_min_u32_e32 v3, v11, v3
	v_min_u32_e32 v11, v27, v26
	v_lshlrev_b64 v[16:17], v3, v[16:17]
	v_lshlrev_b64 v[18:19], v11, v[18:19]
	v_min_u32_e32 v16, 1, v16
	v_min_u32_e32 v18, 1, v18
	v_or_b32_e32 v16, v17, v16
	v_or_b32_e32 v17, v19, v18
	v_cvt_f32_i32_e32 v16, v16
	v_cvt_f32_i32_e32 v18, v17
	;; [unrolled: 1-line block ×4, first 2 shown]
	v_add_u32_e32 v10, -2, v10
	v_sub_u32_e32 v3, 32, v3
	v_sub_u32_e32 v11, 32, v11
	v_ashrrev_i32_e32 v15, 31, v6
	v_mov_b32_e32 v14, v6
	v_cmp_eq_u32_e32 vcc, 0, v10
	v_ldexp_f32 v17, v16, v3
	v_ldexp_f32 v16, v18, v11
	v_ashrrev_i32_e32 v13, 31, v7
	v_mov_b32_e32 v12, v7
	s_or_b64 s[24:25], vcc, s[24:25]
	v_pk_fma_f32 v[20:21], s[12:13], v[20:21], v[4:5]
	v_pk_fma_f32 v[16:17], s[12:13], v[16:17], v[0:1] neg_lo:[1,0,0] neg_hi:[1,0,0]
	v_cmp_gt_i64_e32 vcc, s[16:17], v[14:15]
	v_add_u32_e32 v7, s27, v7
	v_add_u32_e32 v6, s15, v6
	v_lshl_add_u64 v[22:23], v[14:15], 2, s[10:11]
	v_cmp_gt_i64_e64 s[0:1], s[18:19], v[12:13]
	v_cndmask_b32_e32 v11, v16, v20, vcc
	v_lshl_add_u64 v[24:25], v[12:13], 2, s[10:11]
	v_cndmask_b32_e64 v3, v17, v21, s[0:1]
	global_store_dword v[22:23], v11, off
	global_store_dword v[24:25], v3, off
	s_andn2_b64 exec, exec, s[24:25]
	s_cbranch_execnz .LBB12_3
; %bb.4:
	s_or_b64 exec, exec, s[24:25]
	v_mad_u64_u32 v[2:3], s[0:1], v9, s14, v[2:3]
	v_cmp_ne_u32_e32 vcc, v8, v9
	s_orn2_b64 s[0:1], vcc, exec
.LBB12_5:
	s_or_b64 exec, exec, s[2:3]
	s_and_b64 exec, exec, s[0:1]
	s_cbranch_execz .LBB12_12
; %bb.6:
	v_ashrrev_i32_e32 v3, 31, v2
	v_not_b32_e32 v1, v3
	v_not_b32_e32 v0, v2
	s_ashr_i32 s15, s14, 31
	v_lshl_add_u64 v[0:1], v[0:1], 0, s[6:7]
	v_lshl_add_u64 v[4:5], v[2:3], 2, s[10:11]
	s_lshl_b64 s[0:1], s[14:15], 2
	s_mov_b64 s[2:3], 0
	v_mov_b32_e32 v6, s15
	s_branch .LBB12_8
.LBB12_7:                               ;   in Loop: Header=BB12_8 Depth=1
	s_or_b64 exec, exec, s[6:7]
	v_subrev_co_u32_e32 v0, vcc, s14, v0
	v_lshl_add_u64 v[2:3], v[2:3], 0, s[14:15]
	s_nop 0
	v_subb_co_u32_e32 v1, vcc, v1, v6, vcc
	v_cmp_le_i32_e32 vcc, s26, v2
	global_store_dword v[4:5], v7, off
	s_or_b64 s[2:3], vcc, s[2:3]
	v_lshl_add_u64 v[4:5], v[4:5], 0, s[0:1]
	s_andn2_b64 exec, exec, s[2:3]
	s_cbranch_execz .LBB12_12
.LBB12_8:                               ; =>This Inner Loop Header: Depth=1
	v_cmp_le_i64_e32 vcc, s[8:9], v[2:3]
                                        ; implicit-def: $vgpr7
	s_and_saveexec_b64 s[6:7], vcc
	s_xor_b64 s[6:7], exec, s[6:7]
	s_cbranch_execz .LBB12_10
; %bb.9:                                ;   in Loop: Header=BB12_8 Depth=1
	v_xor_b32_e32 v8, v0, v1
	v_ffbh_i32_e32 v7, v1
	v_ashrrev_i32_e32 v8, 31, v8
	v_add_u32_e32 v7, -1, v7
	v_add_u32_e32 v8, 32, v8
	v_min_u32_e32 v7, v7, v8
	v_lshlrev_b64 v[8:9], v7, v[0:1]
	v_min_u32_e32 v8, 1, v8
	v_or_b32_e32 v8, v9, v8
	v_cvt_f32_i32_e32 v8, v8
	v_sub_u32_e32 v7, 32, v7
	v_ldexp_f32 v7, v8, v7
	v_mov_b32_e32 v8, s5
	v_fma_f32 v7, -s12, v7, v8
.LBB12_10:                              ;   in Loop: Header=BB12_8 Depth=1
	s_andn2_saveexec_b64 s[6:7], s[6:7]
	s_cbranch_execz .LBB12_7
; %bb.11:                               ;   in Loop: Header=BB12_8 Depth=1
	v_cvt_f32_i32_e32 v7, v2
	v_mov_b32_e32 v8, s4
	v_fma_f32 v7, s12, v7, v8
	s_branch .LBB12_7
.LBB12_12:
	s_endpgm
	.section	.rodata,"a",@progbits
	.p2align	6, 0x0
	.amdhsa_kernel _ZN12_GLOBAL__N_141elementwise_kernel_with_index_grid_strideIiZZZN2at6native17linspace_cuda_outERKN3c106ScalarES6_lRNS1_6TensorEENKUlvE0_clEvENKUlvE0_clEvEUllE_EEvT_T0_PN15function_traitsISD_E11result_typeE
		.amdhsa_group_segment_fixed_size 0
		.amdhsa_private_segment_fixed_size 0
		.amdhsa_kernarg_size 304
		.amdhsa_user_sgpr_count 2
		.amdhsa_user_sgpr_dispatch_ptr 0
		.amdhsa_user_sgpr_queue_ptr 0
		.amdhsa_user_sgpr_kernarg_segment_ptr 1
		.amdhsa_user_sgpr_dispatch_id 0
		.amdhsa_user_sgpr_kernarg_preload_length 0
		.amdhsa_user_sgpr_kernarg_preload_offset 0
		.amdhsa_user_sgpr_private_segment_size 0
		.amdhsa_uses_dynamic_stack 0
		.amdhsa_enable_private_segment 0
		.amdhsa_system_sgpr_workgroup_id_x 1
		.amdhsa_system_sgpr_workgroup_id_y 0
		.amdhsa_system_sgpr_workgroup_id_z 0
		.amdhsa_system_sgpr_workgroup_info 0
		.amdhsa_system_vgpr_workitem_id 0
		.amdhsa_next_free_vgpr 28
		.amdhsa_next_free_sgpr 30
		.amdhsa_accum_offset 28
		.amdhsa_reserve_vcc 1
		.amdhsa_float_round_mode_32 0
		.amdhsa_float_round_mode_16_64 0
		.amdhsa_float_denorm_mode_32 3
		.amdhsa_float_denorm_mode_16_64 3
		.amdhsa_dx10_clamp 1
		.amdhsa_ieee_mode 1
		.amdhsa_fp16_overflow 0
		.amdhsa_tg_split 0
		.amdhsa_exception_fp_ieee_invalid_op 0
		.amdhsa_exception_fp_denorm_src 0
		.amdhsa_exception_fp_ieee_div_zero 0
		.amdhsa_exception_fp_ieee_overflow 0
		.amdhsa_exception_fp_ieee_underflow 0
		.amdhsa_exception_fp_ieee_inexact 0
		.amdhsa_exception_int_div_zero 0
	.end_amdhsa_kernel
	.section	.text._ZN12_GLOBAL__N_141elementwise_kernel_with_index_grid_strideIiZZZN2at6native17linspace_cuda_outERKN3c106ScalarES6_lRNS1_6TensorEENKUlvE0_clEvENKUlvE0_clEvEUllE_EEvT_T0_PN15function_traitsISD_E11result_typeE,"axG",@progbits,_ZN12_GLOBAL__N_141elementwise_kernel_with_index_grid_strideIiZZZN2at6native17linspace_cuda_outERKN3c106ScalarES6_lRNS1_6TensorEENKUlvE0_clEvENKUlvE0_clEvEUllE_EEvT_T0_PN15function_traitsISD_E11result_typeE,comdat
.Lfunc_end12:
	.size	_ZN12_GLOBAL__N_141elementwise_kernel_with_index_grid_strideIiZZZN2at6native17linspace_cuda_outERKN3c106ScalarES6_lRNS1_6TensorEENKUlvE0_clEvENKUlvE0_clEvEUllE_EEvT_T0_PN15function_traitsISD_E11result_typeE, .Lfunc_end12-_ZN12_GLOBAL__N_141elementwise_kernel_with_index_grid_strideIiZZZN2at6native17linspace_cuda_outERKN3c106ScalarES6_lRNS1_6TensorEENKUlvE0_clEvENKUlvE0_clEvEUllE_EEvT_T0_PN15function_traitsISD_E11result_typeE
                                        ; -- End function
	.set _ZN12_GLOBAL__N_141elementwise_kernel_with_index_grid_strideIiZZZN2at6native17linspace_cuda_outERKN3c106ScalarES6_lRNS1_6TensorEENKUlvE0_clEvENKUlvE0_clEvEUllE_EEvT_T0_PN15function_traitsISD_E11result_typeE.num_vgpr, 28
	.set _ZN12_GLOBAL__N_141elementwise_kernel_with_index_grid_strideIiZZZN2at6native17linspace_cuda_outERKN3c106ScalarES6_lRNS1_6TensorEENKUlvE0_clEvENKUlvE0_clEvEUllE_EEvT_T0_PN15function_traitsISD_E11result_typeE.num_agpr, 0
	.set _ZN12_GLOBAL__N_141elementwise_kernel_with_index_grid_strideIiZZZN2at6native17linspace_cuda_outERKN3c106ScalarES6_lRNS1_6TensorEENKUlvE0_clEvENKUlvE0_clEvEUllE_EEvT_T0_PN15function_traitsISD_E11result_typeE.numbered_sgpr, 30
	.set _ZN12_GLOBAL__N_141elementwise_kernel_with_index_grid_strideIiZZZN2at6native17linspace_cuda_outERKN3c106ScalarES6_lRNS1_6TensorEENKUlvE0_clEvENKUlvE0_clEvEUllE_EEvT_T0_PN15function_traitsISD_E11result_typeE.num_named_barrier, 0
	.set _ZN12_GLOBAL__N_141elementwise_kernel_with_index_grid_strideIiZZZN2at6native17linspace_cuda_outERKN3c106ScalarES6_lRNS1_6TensorEENKUlvE0_clEvENKUlvE0_clEvEUllE_EEvT_T0_PN15function_traitsISD_E11result_typeE.private_seg_size, 0
	.set _ZN12_GLOBAL__N_141elementwise_kernel_with_index_grid_strideIiZZZN2at6native17linspace_cuda_outERKN3c106ScalarES6_lRNS1_6TensorEENKUlvE0_clEvENKUlvE0_clEvEUllE_EEvT_T0_PN15function_traitsISD_E11result_typeE.uses_vcc, 1
	.set _ZN12_GLOBAL__N_141elementwise_kernel_with_index_grid_strideIiZZZN2at6native17linspace_cuda_outERKN3c106ScalarES6_lRNS1_6TensorEENKUlvE0_clEvENKUlvE0_clEvEUllE_EEvT_T0_PN15function_traitsISD_E11result_typeE.uses_flat_scratch, 0
	.set _ZN12_GLOBAL__N_141elementwise_kernel_with_index_grid_strideIiZZZN2at6native17linspace_cuda_outERKN3c106ScalarES6_lRNS1_6TensorEENKUlvE0_clEvENKUlvE0_clEvEUllE_EEvT_T0_PN15function_traitsISD_E11result_typeE.has_dyn_sized_stack, 0
	.set _ZN12_GLOBAL__N_141elementwise_kernel_with_index_grid_strideIiZZZN2at6native17linspace_cuda_outERKN3c106ScalarES6_lRNS1_6TensorEENKUlvE0_clEvENKUlvE0_clEvEUllE_EEvT_T0_PN15function_traitsISD_E11result_typeE.has_recursion, 0
	.set _ZN12_GLOBAL__N_141elementwise_kernel_with_index_grid_strideIiZZZN2at6native17linspace_cuda_outERKN3c106ScalarES6_lRNS1_6TensorEENKUlvE0_clEvENKUlvE0_clEvEUllE_EEvT_T0_PN15function_traitsISD_E11result_typeE.has_indirect_call, 0
	.section	.AMDGPU.csdata,"",@progbits
; Kernel info:
; codeLenInByte = 888
; TotalNumSgprs: 36
; NumVgprs: 28
; NumAgprs: 0
; TotalNumVgprs: 28
; ScratchSize: 0
; MemoryBound: 0
; FloatMode: 240
; IeeeMode: 1
; LDSByteSize: 0 bytes/workgroup (compile time only)
; SGPRBlocks: 4
; VGPRBlocks: 3
; NumSGPRsForWavesPerEU: 36
; NumVGPRsForWavesPerEU: 28
; AccumOffset: 28
; Occupancy: 8
; WaveLimiterHint : 0
; COMPUTE_PGM_RSRC2:SCRATCH_EN: 0
; COMPUTE_PGM_RSRC2:USER_SGPR: 2
; COMPUTE_PGM_RSRC2:TRAP_HANDLER: 0
; COMPUTE_PGM_RSRC2:TGID_X_EN: 1
; COMPUTE_PGM_RSRC2:TGID_Y_EN: 0
; COMPUTE_PGM_RSRC2:TGID_Z_EN: 0
; COMPUTE_PGM_RSRC2:TIDIG_COMP_CNT: 0
; COMPUTE_PGM_RSRC3_GFX90A:ACCUM_OFFSET: 6
; COMPUTE_PGM_RSRC3_GFX90A:TG_SPLIT: 0
	.section	.text._ZN12_GLOBAL__N_141elementwise_kernel_with_index_grid_strideIlZZZN2at6native17linspace_cuda_outERKN3c106ScalarES6_lRNS1_6TensorEENKUlvE0_clEvENKUlvE0_clEvEUllE_EEvT_T0_PN15function_traitsISD_E11result_typeE,"axG",@progbits,_ZN12_GLOBAL__N_141elementwise_kernel_with_index_grid_strideIlZZZN2at6native17linspace_cuda_outERKN3c106ScalarES6_lRNS1_6TensorEENKUlvE0_clEvENKUlvE0_clEvEUllE_EEvT_T0_PN15function_traitsISD_E11result_typeE,comdat
	.globl	_ZN12_GLOBAL__N_141elementwise_kernel_with_index_grid_strideIlZZZN2at6native17linspace_cuda_outERKN3c106ScalarES6_lRNS1_6TensorEENKUlvE0_clEvENKUlvE0_clEvEUllE_EEvT_T0_PN15function_traitsISD_E11result_typeE ; -- Begin function _ZN12_GLOBAL__N_141elementwise_kernel_with_index_grid_strideIlZZZN2at6native17linspace_cuda_outERKN3c106ScalarES6_lRNS1_6TensorEENKUlvE0_clEvENKUlvE0_clEvEUllE_EEvT_T0_PN15function_traitsISD_E11result_typeE
	.p2align	8
	.type	_ZN12_GLOBAL__N_141elementwise_kernel_with_index_grid_strideIlZZZN2at6native17linspace_cuda_outERKN3c106ScalarES6_lRNS1_6TensorEENKUlvE0_clEvENKUlvE0_clEvEUllE_EEvT_T0_PN15function_traitsISD_E11result_typeE,@function
_ZN12_GLOBAL__N_141elementwise_kernel_with_index_grid_strideIlZZZN2at6native17linspace_cuda_outERKN3c106ScalarES6_lRNS1_6TensorEENKUlvE0_clEvENKUlvE0_clEvEUllE_EEvT_T0_PN15function_traitsISD_E11result_typeE: ; @_ZN12_GLOBAL__N_141elementwise_kernel_with_index_grid_strideIlZZZN2at6native17linspace_cuda_outERKN3c106ScalarES6_lRNS1_6TensorEENKUlvE0_clEvENKUlvE0_clEvEUllE_EEvT_T0_PN15function_traitsISD_E11result_typeE
; %bb.0:
	s_load_dword s3, s[0:1], 0x3c
	s_load_dwordx2 s[8:9], s[0:1], 0x0
	s_add_u32 s4, s0, 48
	s_addc_u32 s5, s1, 0
	v_mov_b32_e32 v1, 0
	s_waitcnt lgkmcnt(0)
	s_and_b32 s3, s3, 0xffff
	v_mov_b32_e32 v2, s2
	v_mad_u64_u32 v[2:3], s[6:7], s3, v2, v[0:1]
	v_cmp_gt_i64_e32 vcc, s[8:9], v[2:3]
	s_and_saveexec_b64 s[6:7], vcc
	s_cbranch_execz .LBB13_18
; %bb.1:
	s_load_dword s4, s[4:5], 0x0
	v_mov_b32_e32 v4, s3
	s_mov_b32 s5, 0
	v_mov_b32_e32 v5, s5
	s_load_dwordx2 s[10:11], s[0:1], 0x8
	s_waitcnt lgkmcnt(0)
	s_add_u32 s2, s2, s4
	s_mul_hi_u32 s13, s3, s4
	s_mul_i32 s12, s3, s4
	s_addc_u32 s4, 0, 0
	s_mul_i32 s4, s4, s3
	v_mad_u64_u32 v[6:7], s[2:3], s2, v4, v[0:1]
	v_add_u32_e32 v7, s4, v7
	v_cmp_gt_i64_e32 vcc, s[8:9], v[6:7]
	v_mov_b32_e32 v4, s8
	v_mov_b32_e32 v0, s9
	v_cndmask_b32_e32 v8, v6, v4, vcc
	v_cndmask_b32_e64 v4, 0, 1, vcc
	v_cndmask_b32_e32 v0, v7, v0, vcc
	v_lshl_add_u64 v[6:7], v[6:7], 0, v[4:5]
	v_sub_co_u32_e32 v6, vcc, v8, v6
	v_mov_b32_e32 v8, v1
	s_nop 0
	v_subb_co_u32_e32 v7, vcc, v0, v7, vcc
	v_or_b32_e32 v9, s13, v7
	v_cmp_ne_u64_e32 vcc, 0, v[8:9]
                                        ; implicit-def: $vgpr0_vgpr1
	s_and_saveexec_b64 s[2:3], vcc
	s_xor_b64 s[4:5], exec, s[2:3]
	s_cbranch_execz .LBB13_3
; %bb.2:
	v_cvt_f32_u32_e32 v0, s12
	v_cvt_f32_u32_e32 v1, s13
	s_sub_u32 s6, 0, s12
	s_subb_u32 s7, 0, s13
	v_mov_b32_e32 v9, 0
	v_fmamk_f32 v0, v1, 0x4f800000, v0
	v_rcp_f32_e32 v0, v0
	s_nop 0
	v_mul_f32_e32 v0, 0x5f7ffffc, v0
	v_mul_f32_e32 v1, 0x2f800000, v0
	v_trunc_f32_e32 v1, v1
	v_fmamk_f32 v0, v1, 0xcf800000, v0
	v_cvt_u32_f32_e32 v1, v1
	v_cvt_u32_f32_e32 v0, v0
	v_readfirstlane_b32 s14, v1
	v_readfirstlane_b32 s2, v0
	s_mul_i32 s3, s6, s14
	s_mul_hi_u32 s16, s6, s2
	s_mul_i32 s15, s7, s2
	s_add_i32 s3, s16, s3
	s_mul_i32 s17, s6, s2
	s_add_i32 s3, s3, s15
	s_mul_i32 s16, s2, s3
	s_mul_hi_u32 s18, s2, s17
	s_mul_hi_u32 s15, s2, s3
	s_add_u32 s16, s18, s16
	s_addc_u32 s15, 0, s15
	s_mul_hi_u32 s19, s14, s17
	s_mul_i32 s17, s14, s17
	s_add_u32 s16, s16, s17
	s_mul_hi_u32 s18, s14, s3
	s_addc_u32 s15, s15, s19
	s_addc_u32 s16, s18, 0
	s_mul_i32 s3, s14, s3
	s_add_u32 s3, s15, s3
	s_addc_u32 s15, 0, s16
	s_add_u32 s16, s2, s3
	s_cselect_b64 s[2:3], -1, 0
	s_cmp_lg_u64 s[2:3], 0
	s_addc_u32 s14, s14, s15
	s_mul_i32 s2, s6, s14
	s_mul_hi_u32 s3, s6, s16
	s_add_i32 s2, s3, s2
	s_mul_i32 s7, s7, s16
	s_add_i32 s2, s2, s7
	s_mul_i32 s6, s6, s16
	s_mul_hi_u32 s7, s14, s6
	s_mul_i32 s15, s14, s6
	s_mul_i32 s18, s16, s2
	s_mul_hi_u32 s6, s16, s6
	s_mul_hi_u32 s17, s16, s2
	s_add_u32 s6, s6, s18
	s_addc_u32 s17, 0, s17
	s_add_u32 s6, s6, s15
	s_mul_hi_u32 s3, s14, s2
	s_addc_u32 s6, s17, s7
	s_addc_u32 s3, s3, 0
	s_mul_i32 s2, s14, s2
	s_add_u32 s2, s6, s2
	s_addc_u32 s6, 0, s3
	s_add_u32 s7, s16, s2
	s_cselect_b64 s[2:3], -1, 0
	s_cmp_lg_u64 s[2:3], 0
	s_addc_u32 s6, s14, s6
	v_mad_u64_u32 v[0:1], s[2:3], v6, s6, 0
	v_mul_hi_u32 v8, v6, s7
	v_lshl_add_u64 v[0:1], v[8:9], 0, v[0:1]
	v_mad_u64_u32 v[12:13], s[2:3], v7, s7, 0
	v_add_co_u32_e32 v0, vcc, v0, v12
	v_mad_u64_u32 v[10:11], s[2:3], v7, s6, 0
	s_nop 0
	v_addc_co_u32_e32 v8, vcc, v1, v13, vcc
	s_nop 1
	v_addc_co_u32_e32 v11, vcc, 0, v11, vcc
	v_lshl_add_u64 v[0:1], v[8:9], 0, v[10:11]
	v_mul_lo_u32 v10, s13, v0
	v_mul_lo_u32 v11, s12, v1
	v_mad_u64_u32 v[8:9], s[2:3], s12, v0, 0
	v_add3_u32 v12, v9, v11, v10
	v_sub_u32_e32 v9, v7, v12
	v_mov_b32_e32 v10, s13
	v_sub_co_u32_e32 v6, vcc, v6, v8
	s_nop 1
	v_subb_co_u32_e64 v8, s[2:3], v9, v10, vcc
	v_subrev_co_u32_e64 v9, s[2:3], s12, v6
	v_subb_co_u32_e32 v7, vcc, v7, v12, vcc
	s_nop 0
	v_subbrev_co_u32_e64 v8, s[2:3], 0, v8, s[2:3]
	v_cmp_le_u32_e64 s[2:3], s13, v8
	v_cmp_le_u32_e32 vcc, s13, v7
	s_nop 0
	v_cndmask_b32_e64 v10, 0, -1, s[2:3]
	v_cmp_le_u32_e64 s[2:3], s12, v9
	s_nop 1
	v_cndmask_b32_e64 v9, 0, -1, s[2:3]
	v_cmp_eq_u32_e64 s[2:3], s13, v8
	s_nop 1
	v_cndmask_b32_e64 v13, v10, v9, s[2:3]
	v_lshl_add_u64 v[8:9], v[0:1], 0, 2
	v_lshl_add_u64 v[10:11], v[0:1], 0, 1
	v_cmp_ne_u32_e64 s[2:3], 0, v13
	s_nop 1
	v_cndmask_b32_e64 v9, v11, v9, s[2:3]
	v_cndmask_b32_e64 v11, 0, -1, vcc
	v_cmp_le_u32_e32 vcc, s12, v6
	s_nop 1
	v_cndmask_b32_e64 v6, 0, -1, vcc
	v_cmp_eq_u32_e32 vcc, s13, v7
	s_nop 1
	v_cndmask_b32_e32 v6, v11, v6, vcc
	v_cmp_ne_u32_e32 vcc, 0, v6
	v_cndmask_b32_e64 v6, v10, v8, s[2:3]
	s_nop 0
	v_cndmask_b32_e32 v1, v1, v9, vcc
	v_cndmask_b32_e32 v0, v0, v6, vcc
                                        ; implicit-def: $vgpr6
.LBB13_3:
	s_or_saveexec_b64 s[2:3], s[4:5]
	s_load_dwordx4 s[4:7], s[0:1], 0x20
	s_xor_b64 exec, exec, s[2:3]
	s_cbranch_execz .LBB13_5
; %bb.4:
	v_cvt_f32_u32_e32 v0, s12
	s_sub_i32 s14, 0, s12
	v_rcp_iflag_f32_e32 v0, v0
	s_nop 0
	v_mul_f32_e32 v0, 0x4f7ffffe, v0
	v_cvt_u32_f32_e32 v0, v0
	v_mul_lo_u32 v1, s14, v0
	v_mul_hi_u32 v1, v0, v1
	v_add_u32_e32 v0, v0, v1
	v_mul_hi_u32 v0, v6, v0
	v_mul_lo_u32 v1, v0, s12
	v_sub_u32_e32 v1, v6, v1
	v_add_u32_e32 v7, 1, v0
	v_subrev_u32_e32 v6, s12, v1
	v_cmp_le_u32_e32 vcc, s12, v1
	s_nop 1
	v_cndmask_b32_e32 v1, v1, v6, vcc
	v_cndmask_b32_e32 v0, v0, v7, vcc
	v_add_u32_e32 v6, 1, v0
	v_cmp_le_u32_e32 vcc, s12, v1
	v_mov_b32_e32 v1, 0
	s_nop 0
	v_cndmask_b32_e32 v0, v0, v6, vcc
.LBB13_5:
	s_or_b64 exec, exec, s[2:3]
	s_load_dwordx2 s[14:15], s[0:1], 0x10
	s_load_dword s2, s[0:1], 0x18
	v_lshl_add_u64 v[0:1], v[0:1], 0, v[4:5]
	v_lshl_add_u64 v[0:1], v[0:1], 0, 1
	v_cmp_lt_u64_e32 vcc, 1, v[0:1]
	s_mov_b64 s[0:1], 0
                                        ; implicit-def: $vgpr4_vgpr5
	s_and_saveexec_b64 s[16:17], vcc
	s_xor_b64 s[16:17], exec, s[16:17]
	s_cbranch_execnz .LBB13_8
; %bb.6:
	s_andn2_saveexec_b64 s[16:17], s[16:17]
	s_cbranch_execnz .LBB13_11
.LBB13_7:
	s_or_b64 exec, exec, s[16:17]
	s_and_b64 exec, exec, s[0:1]
	s_cbranch_execnz .LBB13_12
	s_branch .LBB13_18
.LBB13_8:
	v_lshl_add_u64 v[4:5], v[2:3], 0, s[12:13]
	v_and_b32_e32 v8, -2, v0
	v_mov_b32_e32 v9, v1
	s_mov_b32 s0, s11
	s_mov_b32 s1, s11
	s_mov_b32 s36, s10
	s_mov_b32 s37, s10
	s_lshl_b64 s[26:27], s[12:13], 1
	v_mov_b64_e32 v[6:7], v[4:5]
	s_waitcnt lgkmcnt(0)
	s_mov_b32 s18, s4
	s_mov_b32 s19, s5
	;; [unrolled: 1-line block ×9, first 2 shown]
	s_lshl_b64 s[24:25], s[12:13], 2
	v_lshl_add_u64 v[10:11], v[2:3], 2, s[6:7]
	s_lshl_b64 s[34:35], s[12:13], 3
	s_mov_b64 s[30:31], 0
	v_mov_b64_e32 v[12:13], s[0:1]
	v_mov_b64_e32 v[14:15], s[36:37]
	;; [unrolled: 1-line block ×4, first 2 shown]
.LBB13_9:                               ; =>This Inner Loop Header: Depth=1
	v_not_b32_e32 v19, v7
	v_not_b32_e32 v18, v6
	v_not_b32_e32 v21, v5
	v_not_b32_e32 v20, v4
	v_ffbh_u32_e32 v24, v7
	v_ffbh_u32_e32 v25, v5
	v_lshl_add_u64 v[20:21], s[14:15], 0, v[20:21]
	v_lshl_add_u64 v[18:19], s[22:23], 0, v[18:19]
	v_min_u32_e32 v26, 32, v24
	v_min_u32_e32 v28, 32, v25
	v_xor_b32_e32 v29, v18, v19
	v_xor_b32_e32 v31, v20, v21
	v_ffbh_i32_e32 v30, v19
	v_ffbh_i32_e32 v32, v21
	v_lshlrev_b64 v[24:25], v26, v[6:7]
	v_sub_u32_e32 v33, 32, v26
	v_lshlrev_b64 v[26:27], v28, v[4:5]
	v_ashrrev_i32_e32 v29, 31, v29
	v_ashrrev_i32_e32 v31, 31, v31
	v_add_u32_e32 v30, -1, v30
	v_add_u32_e32 v32, -1, v32
	v_min_u32_e32 v24, 1, v24
	v_min_u32_e32 v26, 1, v26
	v_add_u32_e32 v29, 32, v29
	v_add_u32_e32 v31, 32, v31
	v_or_b32_e32 v24, v25, v24
	v_or_b32_e32 v25, v27, v26
	v_min_u32_e32 v26, v30, v29
	v_min_u32_e32 v27, v32, v31
	v_lshlrev_b64 v[18:19], v26, v[18:19]
	v_lshlrev_b64 v[20:21], v27, v[20:21]
	v_min_u32_e32 v18, 1, v18
	v_min_u32_e32 v20, 1, v20
	v_or_b32_e32 v18, v19, v18
	v_or_b32_e32 v19, v21, v20
	v_cvt_f32_u32_e32 v24, v24
	v_cvt_f32_u32_e32 v25, v25
	v_cvt_f32_i32_e32 v20, v18
	v_cvt_f32_i32_e32 v29, v19
	v_lshl_add_u64 v[16:17], v[16:17], 0, -2
	v_sub_u32_e32 v28, 32, v28
	v_sub_u32_e32 v26, 32, v26
	v_sub_u32_e32 v27, 32, v27
	v_cmp_eq_u64_e32 vcc, 0, v[16:17]
	v_ldexp_f32 v19, v24, v33
	v_ldexp_f32 v18, v25, v28
	;; [unrolled: 1-line block ×4, first 2 shown]
	s_or_b64 s[30:31], vcc, s[30:31]
	v_pk_fma_f32 v[18:19], s[2:3], v[18:19], v[14:15]
	v_pk_fma_f32 v[20:21], s[2:3], v[20:21], v[12:13] neg_lo:[1,0,0] neg_hi:[1,0,0]
	v_cmp_gt_i64_e32 vcc, s[18:19], v[4:5]
	v_cmp_gt_i64_e64 s[0:1], s[20:21], v[6:7]
	v_lshl_add_u64 v[22:23], v[10:11], 0, s[24:25]
	v_cndmask_b32_e32 v18, v20, v18, vcc
	v_lshl_add_u64 v[6:7], v[6:7], 0, s[28:29]
	v_lshl_add_u64 v[4:5], v[4:5], 0, s[26:27]
	v_cndmask_b32_e64 v19, v21, v19, s[0:1]
	global_store_dword v[10:11], v18, off
	global_store_dword v[22:23], v19, off
	v_lshl_add_u64 v[10:11], v[10:11], 0, s[34:35]
	s_andn2_b64 exec, exec, s[30:31]
	s_cbranch_execnz .LBB13_9
; %bb.10:
	s_or_b64 exec, exec, s[30:31]
	v_mad_u64_u32 v[2:3], s[0:1], v8, s12, v[2:3]
	v_mul_lo_u32 v4, v8, s13
	v_mul_lo_u32 v5, v9, s12
	v_cmp_ne_u64_e32 vcc, v[0:1], v[8:9]
	v_add3_u32 v3, v5, v3, v4
	v_mov_b64_e32 v[4:5], s[24:25]
	s_and_b64 s[0:1], vcc, exec
	s_andn2_saveexec_b64 s[16:17], s[16:17]
	s_cbranch_execz .LBB13_7
.LBB13_11:
	s_lshl_b64 s[18:19], s[12:13], 2
	v_mov_b64_e32 v[4:5], s[18:19]
	s_or_b64 s[0:1], s[0:1], exec
	s_or_b64 exec, exec, s[16:17]
	s_and_b64 exec, exec, s[0:1]
	s_cbranch_execz .LBB13_18
.LBB13_12:
	v_not_b32_e32 v1, v3
	v_not_b32_e32 v0, v2
	s_waitcnt lgkmcnt(0)
	v_lshl_add_u64 v[0:1], v[0:1], 0, s[14:15]
	v_lshl_add_u64 v[6:7], v[2:3], 2, s[6:7]
	s_mov_b64 s[0:1], 0
	v_mov_b32_e32 v8, s13
	s_branch .LBB13_14
.LBB13_13:                              ;   in Loop: Header=BB13_14 Depth=1
	s_or_b64 exec, exec, s[6:7]
	v_subrev_co_u32_e32 v0, vcc, s12, v0
	v_lshl_add_u64 v[2:3], v[2:3], 0, s[12:13]
	s_nop 0
	v_subb_co_u32_e32 v1, vcc, v1, v8, vcc
	v_cmp_le_i64_e32 vcc, s[8:9], v[2:3]
	global_store_dword v[6:7], v9, off
	s_or_b64 s[0:1], vcc, s[0:1]
	v_lshl_add_u64 v[6:7], v[6:7], 0, v[4:5]
	s_andn2_b64 exec, exec, s[0:1]
	s_cbranch_execz .LBB13_18
.LBB13_14:                              ; =>This Inner Loop Header: Depth=1
	v_cmp_le_i64_e32 vcc, s[4:5], v[2:3]
                                        ; implicit-def: $vgpr9
	s_and_saveexec_b64 s[6:7], vcc
	s_xor_b64 s[6:7], exec, s[6:7]
	s_cbranch_execz .LBB13_16
; %bb.15:                               ;   in Loop: Header=BB13_14 Depth=1
	v_xor_b32_e32 v10, v0, v1
	v_ffbh_i32_e32 v9, v1
	v_ashrrev_i32_e32 v10, 31, v10
	v_add_u32_e32 v9, -1, v9
	v_add_u32_e32 v10, 32, v10
	v_min_u32_e32 v9, v9, v10
	v_lshlrev_b64 v[10:11], v9, v[0:1]
	v_min_u32_e32 v10, 1, v10
	v_or_b32_e32 v10, v11, v10
	v_cvt_f32_i32_e32 v10, v10
	v_sub_u32_e32 v9, 32, v9
	v_ldexp_f32 v9, v10, v9
	v_mov_b32_e32 v10, s11
	v_fma_f32 v9, -s2, v9, v10
.LBB13_16:                              ;   in Loop: Header=BB13_14 Depth=1
	s_andn2_saveexec_b64 s[6:7], s[6:7]
	s_cbranch_execz .LBB13_13
; %bb.17:                               ;   in Loop: Header=BB13_14 Depth=1
	v_ffbh_u32_e32 v9, v3
	v_min_u32_e32 v9, 32, v9
	v_lshlrev_b64 v[10:11], v9, v[2:3]
	v_min_u32_e32 v10, 1, v10
	v_or_b32_e32 v10, v11, v10
	v_cvt_f32_u32_e32 v10, v10
	v_sub_u32_e32 v9, 32, v9
	v_ldexp_f32 v9, v10, v9
	v_mov_b32_e32 v10, s10
	v_fma_f32 v9, s2, v9, v10
	s_branch .LBB13_13
.LBB13_18:
	s_endpgm
	.section	.rodata,"a",@progbits
	.p2align	6, 0x0
	.amdhsa_kernel _ZN12_GLOBAL__N_141elementwise_kernel_with_index_grid_strideIlZZZN2at6native17linspace_cuda_outERKN3c106ScalarES6_lRNS1_6TensorEENKUlvE0_clEvENKUlvE0_clEvEUllE_EEvT_T0_PN15function_traitsISD_E11result_typeE
		.amdhsa_group_segment_fixed_size 0
		.amdhsa_private_segment_fixed_size 0
		.amdhsa_kernarg_size 304
		.amdhsa_user_sgpr_count 2
		.amdhsa_user_sgpr_dispatch_ptr 0
		.amdhsa_user_sgpr_queue_ptr 0
		.amdhsa_user_sgpr_kernarg_segment_ptr 1
		.amdhsa_user_sgpr_dispatch_id 0
		.amdhsa_user_sgpr_kernarg_preload_length 0
		.amdhsa_user_sgpr_kernarg_preload_offset 0
		.amdhsa_user_sgpr_private_segment_size 0
		.amdhsa_uses_dynamic_stack 0
		.amdhsa_enable_private_segment 0
		.amdhsa_system_sgpr_workgroup_id_x 1
		.amdhsa_system_sgpr_workgroup_id_y 0
		.amdhsa_system_sgpr_workgroup_id_z 0
		.amdhsa_system_sgpr_workgroup_info 0
		.amdhsa_system_vgpr_workitem_id 0
		.amdhsa_next_free_vgpr 34
		.amdhsa_next_free_sgpr 38
		.amdhsa_accum_offset 36
		.amdhsa_reserve_vcc 1
		.amdhsa_float_round_mode_32 0
		.amdhsa_float_round_mode_16_64 0
		.amdhsa_float_denorm_mode_32 3
		.amdhsa_float_denorm_mode_16_64 3
		.amdhsa_dx10_clamp 1
		.amdhsa_ieee_mode 1
		.amdhsa_fp16_overflow 0
		.amdhsa_tg_split 0
		.amdhsa_exception_fp_ieee_invalid_op 0
		.amdhsa_exception_fp_denorm_src 0
		.amdhsa_exception_fp_ieee_div_zero 0
		.amdhsa_exception_fp_ieee_overflow 0
		.amdhsa_exception_fp_ieee_underflow 0
		.amdhsa_exception_fp_ieee_inexact 0
		.amdhsa_exception_int_div_zero 0
	.end_amdhsa_kernel
	.section	.text._ZN12_GLOBAL__N_141elementwise_kernel_with_index_grid_strideIlZZZN2at6native17linspace_cuda_outERKN3c106ScalarES6_lRNS1_6TensorEENKUlvE0_clEvENKUlvE0_clEvEUllE_EEvT_T0_PN15function_traitsISD_E11result_typeE,"axG",@progbits,_ZN12_GLOBAL__N_141elementwise_kernel_with_index_grid_strideIlZZZN2at6native17linspace_cuda_outERKN3c106ScalarES6_lRNS1_6TensorEENKUlvE0_clEvENKUlvE0_clEvEUllE_EEvT_T0_PN15function_traitsISD_E11result_typeE,comdat
.Lfunc_end13:
	.size	_ZN12_GLOBAL__N_141elementwise_kernel_with_index_grid_strideIlZZZN2at6native17linspace_cuda_outERKN3c106ScalarES6_lRNS1_6TensorEENKUlvE0_clEvENKUlvE0_clEvEUllE_EEvT_T0_PN15function_traitsISD_E11result_typeE, .Lfunc_end13-_ZN12_GLOBAL__N_141elementwise_kernel_with_index_grid_strideIlZZZN2at6native17linspace_cuda_outERKN3c106ScalarES6_lRNS1_6TensorEENKUlvE0_clEvENKUlvE0_clEvEUllE_EEvT_T0_PN15function_traitsISD_E11result_typeE
                                        ; -- End function
	.set _ZN12_GLOBAL__N_141elementwise_kernel_with_index_grid_strideIlZZZN2at6native17linspace_cuda_outERKN3c106ScalarES6_lRNS1_6TensorEENKUlvE0_clEvENKUlvE0_clEvEUllE_EEvT_T0_PN15function_traitsISD_E11result_typeE.num_vgpr, 34
	.set _ZN12_GLOBAL__N_141elementwise_kernel_with_index_grid_strideIlZZZN2at6native17linspace_cuda_outERKN3c106ScalarES6_lRNS1_6TensorEENKUlvE0_clEvENKUlvE0_clEvEUllE_EEvT_T0_PN15function_traitsISD_E11result_typeE.num_agpr, 0
	.set _ZN12_GLOBAL__N_141elementwise_kernel_with_index_grid_strideIlZZZN2at6native17linspace_cuda_outERKN3c106ScalarES6_lRNS1_6TensorEENKUlvE0_clEvENKUlvE0_clEvEUllE_EEvT_T0_PN15function_traitsISD_E11result_typeE.numbered_sgpr, 38
	.set _ZN12_GLOBAL__N_141elementwise_kernel_with_index_grid_strideIlZZZN2at6native17linspace_cuda_outERKN3c106ScalarES6_lRNS1_6TensorEENKUlvE0_clEvENKUlvE0_clEvEUllE_EEvT_T0_PN15function_traitsISD_E11result_typeE.num_named_barrier, 0
	.set _ZN12_GLOBAL__N_141elementwise_kernel_with_index_grid_strideIlZZZN2at6native17linspace_cuda_outERKN3c106ScalarES6_lRNS1_6TensorEENKUlvE0_clEvENKUlvE0_clEvEUllE_EEvT_T0_PN15function_traitsISD_E11result_typeE.private_seg_size, 0
	.set _ZN12_GLOBAL__N_141elementwise_kernel_with_index_grid_strideIlZZZN2at6native17linspace_cuda_outERKN3c106ScalarES6_lRNS1_6TensorEENKUlvE0_clEvENKUlvE0_clEvEUllE_EEvT_T0_PN15function_traitsISD_E11result_typeE.uses_vcc, 1
	.set _ZN12_GLOBAL__N_141elementwise_kernel_with_index_grid_strideIlZZZN2at6native17linspace_cuda_outERKN3c106ScalarES6_lRNS1_6TensorEENKUlvE0_clEvENKUlvE0_clEvEUllE_EEvT_T0_PN15function_traitsISD_E11result_typeE.uses_flat_scratch, 0
	.set _ZN12_GLOBAL__N_141elementwise_kernel_with_index_grid_strideIlZZZN2at6native17linspace_cuda_outERKN3c106ScalarES6_lRNS1_6TensorEENKUlvE0_clEvENKUlvE0_clEvEUllE_EEvT_T0_PN15function_traitsISD_E11result_typeE.has_dyn_sized_stack, 0
	.set _ZN12_GLOBAL__N_141elementwise_kernel_with_index_grid_strideIlZZZN2at6native17linspace_cuda_outERKN3c106ScalarES6_lRNS1_6TensorEENKUlvE0_clEvENKUlvE0_clEvEUllE_EEvT_T0_PN15function_traitsISD_E11result_typeE.has_recursion, 0
	.set _ZN12_GLOBAL__N_141elementwise_kernel_with_index_grid_strideIlZZZN2at6native17linspace_cuda_outERKN3c106ScalarES6_lRNS1_6TensorEENKUlvE0_clEvENKUlvE0_clEvEUllE_EEvT_T0_PN15function_traitsISD_E11result_typeE.has_indirect_call, 0
	.section	.AMDGPU.csdata,"",@progbits
; Kernel info:
; codeLenInByte = 1772
; TotalNumSgprs: 44
; NumVgprs: 34
; NumAgprs: 0
; TotalNumVgprs: 34
; ScratchSize: 0
; MemoryBound: 0
; FloatMode: 240
; IeeeMode: 1
; LDSByteSize: 0 bytes/workgroup (compile time only)
; SGPRBlocks: 5
; VGPRBlocks: 4
; NumSGPRsForWavesPerEU: 44
; NumVGPRsForWavesPerEU: 34
; AccumOffset: 36
; Occupancy: 8
; WaveLimiterHint : 0
; COMPUTE_PGM_RSRC2:SCRATCH_EN: 0
; COMPUTE_PGM_RSRC2:USER_SGPR: 2
; COMPUTE_PGM_RSRC2:TRAP_HANDLER: 0
; COMPUTE_PGM_RSRC2:TGID_X_EN: 1
; COMPUTE_PGM_RSRC2:TGID_Y_EN: 0
; COMPUTE_PGM_RSRC2:TGID_Z_EN: 0
; COMPUTE_PGM_RSRC2:TIDIG_COMP_CNT: 0
; COMPUTE_PGM_RSRC3_GFX90A:ACCUM_OFFSET: 8
; COMPUTE_PGM_RSRC3_GFX90A:TG_SPLIT: 0
	.section	.text._ZN12_GLOBAL__N_141elementwise_kernel_with_index_grid_strideIiZZZN2at6native17linspace_cuda_outERKN3c106ScalarES6_lRNS1_6TensorEENKUlvE0_clEvENKUlvE1_clEvEUllE_EEvT_T0_PN15function_traitsISD_E11result_typeE,"axG",@progbits,_ZN12_GLOBAL__N_141elementwise_kernel_with_index_grid_strideIiZZZN2at6native17linspace_cuda_outERKN3c106ScalarES6_lRNS1_6TensorEENKUlvE0_clEvENKUlvE1_clEvEUllE_EEvT_T0_PN15function_traitsISD_E11result_typeE,comdat
	.globl	_ZN12_GLOBAL__N_141elementwise_kernel_with_index_grid_strideIiZZZN2at6native17linspace_cuda_outERKN3c106ScalarES6_lRNS1_6TensorEENKUlvE0_clEvENKUlvE1_clEvEUllE_EEvT_T0_PN15function_traitsISD_E11result_typeE ; -- Begin function _ZN12_GLOBAL__N_141elementwise_kernel_with_index_grid_strideIiZZZN2at6native17linspace_cuda_outERKN3c106ScalarES6_lRNS1_6TensorEENKUlvE0_clEvENKUlvE1_clEvEUllE_EEvT_T0_PN15function_traitsISD_E11result_typeE
	.p2align	8
	.type	_ZN12_GLOBAL__N_141elementwise_kernel_with_index_grid_strideIiZZZN2at6native17linspace_cuda_outERKN3c106ScalarES6_lRNS1_6TensorEENKUlvE0_clEvENKUlvE1_clEvEUllE_EEvT_T0_PN15function_traitsISD_E11result_typeE,@function
_ZN12_GLOBAL__N_141elementwise_kernel_with_index_grid_strideIiZZZN2at6native17linspace_cuda_outERKN3c106ScalarES6_lRNS1_6TensorEENKUlvE0_clEvENKUlvE1_clEvEUllE_EEvT_T0_PN15function_traitsISD_E11result_typeE: ; @_ZN12_GLOBAL__N_141elementwise_kernel_with_index_grid_strideIiZZZN2at6native17linspace_cuda_outERKN3c106ScalarES6_lRNS1_6TensorEENKUlvE0_clEvENKUlvE1_clEvEUllE_EEvT_T0_PN15function_traitsISD_E11result_typeE
; %bb.0:
	s_load_dword s3, s[0:1], 0x74
	s_load_dword s22, s[0:1], 0x0
	s_add_u32 s16, s0, 0x68
	s_addc_u32 s17, s1, 0
	s_waitcnt lgkmcnt(0)
	s_and_b32 s18, s3, 0xffff
	s_mul_i32 s2, s2, s18
	v_add_u32_e32 v4, s2, v0
	v_cmp_gt_i32_e32 vcc, s22, v4
	s_and_saveexec_b64 s[2:3], vcc
	s_cbranch_execz .LBB14_7
; %bb.1:
	s_load_dwordx8 s[4:11], s[0:1], 0x10
	s_load_dword s19, s[16:17], 0x0
	s_load_dwordx2 s[20:21], s[0:1], 0x30
	s_load_dwordx4 s[12:15], s[0:1], 0x40
	s_load_dwordx2 s[24:25], s[0:1], 0x60
	s_load_dwordx2 s[2:3], s[0:1], 0x50
	v_ashrrev_i32_e32 v5, 31, v4
	s_waitcnt lgkmcnt(0)
	s_mul_i32 s0, s19, s18
	v_not_b32_e32 v1, v5
	v_not_b32_e32 v0, v4
	v_lshl_add_u64 v[6:7], v[0:1], 0, s[20:21]
	s_ashr_i32 s1, s0, 31
	v_lshl_add_u64 v[0:1], v[4:5], 4, s[24:25]
	v_lshl_add_u64 v[8:9], v[0:1], 0, 8
	s_lshl_b64 s[16:17], s[0:1], 4
	s_mov_b64 s[18:19], 0
	v_mov_b32_e32 v10, s1
	s_branch .LBB14_3
.LBB14_2:                               ;   in Loop: Header=BB14_3 Depth=1
	s_or_b64 exec, exec, s[20:21]
	v_subrev_co_u32_e32 v6, vcc, s0, v6
	v_lshl_add_u64 v[4:5], v[4:5], 0, s[0:1]
	s_nop 0
	v_subb_co_u32_e32 v7, vcc, v7, v10, vcc
	v_cmp_le_i32_e32 vcc, s22, v4
	global_store_dwordx4 v[8:9], v[0:3], off offset:-8
	s_or_b64 s[18:19], vcc, s[18:19]
	v_lshl_add_u64 v[8:9], v[8:9], 0, s[16:17]
	s_andn2_b64 exec, exec, s[18:19]
	s_cbranch_execz .LBB14_7
.LBB14_3:                               ; =>This Inner Loop Header: Depth=1
	v_cmp_le_i64_e32 vcc, s[2:3], v[4:5]
                                        ; implicit-def: $vgpr2_vgpr3
	s_and_saveexec_b64 s[20:21], vcc
	s_xor_b64 s[20:21], exec, s[20:21]
; %bb.4:                                ;   in Loop: Header=BB14_3 Depth=1
	v_cvt_f64_i32_e32 v[0:1], v7
	v_ldexp_f64 v[0:1], v[0:1], 32
	v_cvt_f64_u32_e32 v[2:3], v6
	v_add_f64 v[2:3], v[0:1], v[2:3]
	v_mov_b64_e32 v[0:1], s[8:9]
	v_mov_b64_e32 v[12:13], s[10:11]
	v_fma_f64 v[0:1], -s[12:13], v[2:3], v[0:1]
	v_fma_f64 v[2:3], -s[14:15], v[2:3], v[12:13]
; %bb.5:                                ;   in Loop: Header=BB14_3 Depth=1
	s_andn2_saveexec_b64 s[20:21], s[20:21]
	s_cbranch_execz .LBB14_2
; %bb.6:                                ;   in Loop: Header=BB14_3 Depth=1
	v_cvt_f64_i32_e32 v[2:3], v4
	v_mov_b64_e32 v[0:1], s[4:5]
	v_mov_b64_e32 v[12:13], s[6:7]
	v_fma_f64 v[0:1], s[12:13], v[2:3], v[0:1]
	v_fma_f64 v[2:3], s[14:15], v[2:3], v[12:13]
	s_branch .LBB14_2
.LBB14_7:
	s_endpgm
	.section	.rodata,"a",@progbits
	.p2align	6, 0x0
	.amdhsa_kernel _ZN12_GLOBAL__N_141elementwise_kernel_with_index_grid_strideIiZZZN2at6native17linspace_cuda_outERKN3c106ScalarES6_lRNS1_6TensorEENKUlvE0_clEvENKUlvE1_clEvEUllE_EEvT_T0_PN15function_traitsISD_E11result_typeE
		.amdhsa_group_segment_fixed_size 0
		.amdhsa_private_segment_fixed_size 0
		.amdhsa_kernarg_size 360
		.amdhsa_user_sgpr_count 2
		.amdhsa_user_sgpr_dispatch_ptr 0
		.amdhsa_user_sgpr_queue_ptr 0
		.amdhsa_user_sgpr_kernarg_segment_ptr 1
		.amdhsa_user_sgpr_dispatch_id 0
		.amdhsa_user_sgpr_kernarg_preload_length 0
		.amdhsa_user_sgpr_kernarg_preload_offset 0
		.amdhsa_user_sgpr_private_segment_size 0
		.amdhsa_uses_dynamic_stack 0
		.amdhsa_enable_private_segment 0
		.amdhsa_system_sgpr_workgroup_id_x 1
		.amdhsa_system_sgpr_workgroup_id_y 0
		.amdhsa_system_sgpr_workgroup_id_z 0
		.amdhsa_system_sgpr_workgroup_info 0
		.amdhsa_system_vgpr_workitem_id 0
		.amdhsa_next_free_vgpr 14
		.amdhsa_next_free_sgpr 26
		.amdhsa_accum_offset 16
		.amdhsa_reserve_vcc 1
		.amdhsa_float_round_mode_32 0
		.amdhsa_float_round_mode_16_64 0
		.amdhsa_float_denorm_mode_32 3
		.amdhsa_float_denorm_mode_16_64 3
		.amdhsa_dx10_clamp 1
		.amdhsa_ieee_mode 1
		.amdhsa_fp16_overflow 0
		.amdhsa_tg_split 0
		.amdhsa_exception_fp_ieee_invalid_op 0
		.amdhsa_exception_fp_denorm_src 0
		.amdhsa_exception_fp_ieee_div_zero 0
		.amdhsa_exception_fp_ieee_overflow 0
		.amdhsa_exception_fp_ieee_underflow 0
		.amdhsa_exception_fp_ieee_inexact 0
		.amdhsa_exception_int_div_zero 0
	.end_amdhsa_kernel
	.section	.text._ZN12_GLOBAL__N_141elementwise_kernel_with_index_grid_strideIiZZZN2at6native17linspace_cuda_outERKN3c106ScalarES6_lRNS1_6TensorEENKUlvE0_clEvENKUlvE1_clEvEUllE_EEvT_T0_PN15function_traitsISD_E11result_typeE,"axG",@progbits,_ZN12_GLOBAL__N_141elementwise_kernel_with_index_grid_strideIiZZZN2at6native17linspace_cuda_outERKN3c106ScalarES6_lRNS1_6TensorEENKUlvE0_clEvENKUlvE1_clEvEUllE_EEvT_T0_PN15function_traitsISD_E11result_typeE,comdat
.Lfunc_end14:
	.size	_ZN12_GLOBAL__N_141elementwise_kernel_with_index_grid_strideIiZZZN2at6native17linspace_cuda_outERKN3c106ScalarES6_lRNS1_6TensorEENKUlvE0_clEvENKUlvE1_clEvEUllE_EEvT_T0_PN15function_traitsISD_E11result_typeE, .Lfunc_end14-_ZN12_GLOBAL__N_141elementwise_kernel_with_index_grid_strideIiZZZN2at6native17linspace_cuda_outERKN3c106ScalarES6_lRNS1_6TensorEENKUlvE0_clEvENKUlvE1_clEvEUllE_EEvT_T0_PN15function_traitsISD_E11result_typeE
                                        ; -- End function
	.set _ZN12_GLOBAL__N_141elementwise_kernel_with_index_grid_strideIiZZZN2at6native17linspace_cuda_outERKN3c106ScalarES6_lRNS1_6TensorEENKUlvE0_clEvENKUlvE1_clEvEUllE_EEvT_T0_PN15function_traitsISD_E11result_typeE.num_vgpr, 14
	.set _ZN12_GLOBAL__N_141elementwise_kernel_with_index_grid_strideIiZZZN2at6native17linspace_cuda_outERKN3c106ScalarES6_lRNS1_6TensorEENKUlvE0_clEvENKUlvE1_clEvEUllE_EEvT_T0_PN15function_traitsISD_E11result_typeE.num_agpr, 0
	.set _ZN12_GLOBAL__N_141elementwise_kernel_with_index_grid_strideIiZZZN2at6native17linspace_cuda_outERKN3c106ScalarES6_lRNS1_6TensorEENKUlvE0_clEvENKUlvE1_clEvEUllE_EEvT_T0_PN15function_traitsISD_E11result_typeE.numbered_sgpr, 26
	.set _ZN12_GLOBAL__N_141elementwise_kernel_with_index_grid_strideIiZZZN2at6native17linspace_cuda_outERKN3c106ScalarES6_lRNS1_6TensorEENKUlvE0_clEvENKUlvE1_clEvEUllE_EEvT_T0_PN15function_traitsISD_E11result_typeE.num_named_barrier, 0
	.set _ZN12_GLOBAL__N_141elementwise_kernel_with_index_grid_strideIiZZZN2at6native17linspace_cuda_outERKN3c106ScalarES6_lRNS1_6TensorEENKUlvE0_clEvENKUlvE1_clEvEUllE_EEvT_T0_PN15function_traitsISD_E11result_typeE.private_seg_size, 0
	.set _ZN12_GLOBAL__N_141elementwise_kernel_with_index_grid_strideIiZZZN2at6native17linspace_cuda_outERKN3c106ScalarES6_lRNS1_6TensorEENKUlvE0_clEvENKUlvE1_clEvEUllE_EEvT_T0_PN15function_traitsISD_E11result_typeE.uses_vcc, 1
	.set _ZN12_GLOBAL__N_141elementwise_kernel_with_index_grid_strideIiZZZN2at6native17linspace_cuda_outERKN3c106ScalarES6_lRNS1_6TensorEENKUlvE0_clEvENKUlvE1_clEvEUllE_EEvT_T0_PN15function_traitsISD_E11result_typeE.uses_flat_scratch, 0
	.set _ZN12_GLOBAL__N_141elementwise_kernel_with_index_grid_strideIiZZZN2at6native17linspace_cuda_outERKN3c106ScalarES6_lRNS1_6TensorEENKUlvE0_clEvENKUlvE1_clEvEUllE_EEvT_T0_PN15function_traitsISD_E11result_typeE.has_dyn_sized_stack, 0
	.set _ZN12_GLOBAL__N_141elementwise_kernel_with_index_grid_strideIiZZZN2at6native17linspace_cuda_outERKN3c106ScalarES6_lRNS1_6TensorEENKUlvE0_clEvENKUlvE1_clEvEUllE_EEvT_T0_PN15function_traitsISD_E11result_typeE.has_recursion, 0
	.set _ZN12_GLOBAL__N_141elementwise_kernel_with_index_grid_strideIiZZZN2at6native17linspace_cuda_outERKN3c106ScalarES6_lRNS1_6TensorEENKUlvE0_clEvENKUlvE1_clEvEUllE_EEvT_T0_PN15function_traitsISD_E11result_typeE.has_indirect_call, 0
	.section	.AMDGPU.csdata,"",@progbits
; Kernel info:
; codeLenInByte = 332
; TotalNumSgprs: 32
; NumVgprs: 14
; NumAgprs: 0
; TotalNumVgprs: 14
; ScratchSize: 0
; MemoryBound: 0
; FloatMode: 240
; IeeeMode: 1
; LDSByteSize: 0 bytes/workgroup (compile time only)
; SGPRBlocks: 3
; VGPRBlocks: 1
; NumSGPRsForWavesPerEU: 32
; NumVGPRsForWavesPerEU: 14
; AccumOffset: 16
; Occupancy: 8
; WaveLimiterHint : 1
; COMPUTE_PGM_RSRC2:SCRATCH_EN: 0
; COMPUTE_PGM_RSRC2:USER_SGPR: 2
; COMPUTE_PGM_RSRC2:TRAP_HANDLER: 0
; COMPUTE_PGM_RSRC2:TGID_X_EN: 1
; COMPUTE_PGM_RSRC2:TGID_Y_EN: 0
; COMPUTE_PGM_RSRC2:TGID_Z_EN: 0
; COMPUTE_PGM_RSRC2:TIDIG_COMP_CNT: 0
; COMPUTE_PGM_RSRC3_GFX90A:ACCUM_OFFSET: 3
; COMPUTE_PGM_RSRC3_GFX90A:TG_SPLIT: 0
	.section	.text._ZN12_GLOBAL__N_141elementwise_kernel_with_index_grid_strideIlZZZN2at6native17linspace_cuda_outERKN3c106ScalarES6_lRNS1_6TensorEENKUlvE0_clEvENKUlvE1_clEvEUllE_EEvT_T0_PN15function_traitsISD_E11result_typeE,"axG",@progbits,_ZN12_GLOBAL__N_141elementwise_kernel_with_index_grid_strideIlZZZN2at6native17linspace_cuda_outERKN3c106ScalarES6_lRNS1_6TensorEENKUlvE0_clEvENKUlvE1_clEvEUllE_EEvT_T0_PN15function_traitsISD_E11result_typeE,comdat
	.globl	_ZN12_GLOBAL__N_141elementwise_kernel_with_index_grid_strideIlZZZN2at6native17linspace_cuda_outERKN3c106ScalarES6_lRNS1_6TensorEENKUlvE0_clEvENKUlvE1_clEvEUllE_EEvT_T0_PN15function_traitsISD_E11result_typeE ; -- Begin function _ZN12_GLOBAL__N_141elementwise_kernel_with_index_grid_strideIlZZZN2at6native17linspace_cuda_outERKN3c106ScalarES6_lRNS1_6TensorEENKUlvE0_clEvENKUlvE1_clEvEUllE_EEvT_T0_PN15function_traitsISD_E11result_typeE
	.p2align	8
	.type	_ZN12_GLOBAL__N_141elementwise_kernel_with_index_grid_strideIlZZZN2at6native17linspace_cuda_outERKN3c106ScalarES6_lRNS1_6TensorEENKUlvE0_clEvENKUlvE1_clEvEUllE_EEvT_T0_PN15function_traitsISD_E11result_typeE,@function
_ZN12_GLOBAL__N_141elementwise_kernel_with_index_grid_strideIlZZZN2at6native17linspace_cuda_outERKN3c106ScalarES6_lRNS1_6TensorEENKUlvE0_clEvENKUlvE1_clEvEUllE_EEvT_T0_PN15function_traitsISD_E11result_typeE: ; @_ZN12_GLOBAL__N_141elementwise_kernel_with_index_grid_strideIlZZZN2at6native17linspace_cuda_outERKN3c106ScalarES6_lRNS1_6TensorEENKUlvE0_clEvENKUlvE1_clEvEUllE_EEvT_T0_PN15function_traitsISD_E11result_typeE
; %bb.0:
	s_load_dword s3, s[0:1], 0x74
	s_load_dwordx2 s[16:17], s[0:1], 0x0
	s_add_u32 s18, s0, 0x68
	s_addc_u32 s19, s1, 0
	v_mov_b32_e32 v1, 0
	s_waitcnt lgkmcnt(0)
	s_and_b32 s20, s3, 0xffff
	v_mov_b32_e32 v2, s2
	v_mad_u64_u32 v[4:5], s[2:3], s20, v2, v[0:1]
	v_cmp_gt_i64_e32 vcc, s[16:17], v[4:5]
	s_and_saveexec_b64 s[2:3], vcc
	s_cbranch_execz .LBB15_7
; %bb.1:
	s_load_dwordx8 s[4:11], s[0:1], 0x10
	s_load_dword s21, s[18:19], 0x0
	s_load_dwordx2 s[22:23], s[0:1], 0x30
	s_load_dwordx4 s[12:15], s[0:1], 0x40
	s_load_dwordx2 s[24:25], s[0:1], 0x60
	s_load_dwordx2 s[2:3], s[0:1], 0x50
	v_not_b32_e32 v1, v5
	v_not_b32_e32 v0, v4
	s_waitcnt lgkmcnt(0)
	s_mul_hi_u32 s1, s20, s21
	s_mul_i32 s0, s20, s21
	v_lshl_add_u64 v[6:7], v[0:1], 0, s[22:23]
	v_lshl_add_u64 v[0:1], v[4:5], 4, s[24:25]
	;; [unrolled: 1-line block ×3, first 2 shown]
	s_lshl_b64 s[18:19], s[0:1], 4
	s_mov_b64 s[20:21], 0
	v_mov_b32_e32 v10, s1
	s_branch .LBB15_3
.LBB15_2:                               ;   in Loop: Header=BB15_3 Depth=1
	s_or_b64 exec, exec, s[22:23]
	v_subrev_co_u32_e32 v6, vcc, s0, v6
	v_lshl_add_u64 v[4:5], v[4:5], 0, s[0:1]
	s_nop 0
	v_subb_co_u32_e32 v7, vcc, v7, v10, vcc
	v_cmp_le_i64_e32 vcc, s[16:17], v[4:5]
	global_store_dwordx4 v[8:9], v[0:3], off offset:-8
	s_or_b64 s[20:21], vcc, s[20:21]
	v_lshl_add_u64 v[8:9], v[8:9], 0, s[18:19]
	s_andn2_b64 exec, exec, s[20:21]
	s_cbranch_execz .LBB15_7
.LBB15_3:                               ; =>This Inner Loop Header: Depth=1
	v_cmp_le_i64_e32 vcc, s[2:3], v[4:5]
                                        ; implicit-def: $vgpr2_vgpr3
	s_and_saveexec_b64 s[22:23], vcc
	s_xor_b64 s[22:23], exec, s[22:23]
; %bb.4:                                ;   in Loop: Header=BB15_3 Depth=1
	v_cvt_f64_i32_e32 v[0:1], v7
	v_ldexp_f64 v[0:1], v[0:1], 32
	v_cvt_f64_u32_e32 v[2:3], v6
	v_add_f64 v[2:3], v[0:1], v[2:3]
	v_mov_b64_e32 v[0:1], s[8:9]
	v_mov_b64_e32 v[12:13], s[10:11]
	v_fma_f64 v[0:1], -s[12:13], v[2:3], v[0:1]
	v_fma_f64 v[2:3], -s[14:15], v[2:3], v[12:13]
; %bb.5:                                ;   in Loop: Header=BB15_3 Depth=1
	s_andn2_saveexec_b64 s[22:23], s[22:23]
	s_cbranch_execz .LBB15_2
; %bb.6:                                ;   in Loop: Header=BB15_3 Depth=1
	v_cvt_f64_u32_e32 v[0:1], v5
	v_ldexp_f64 v[0:1], v[0:1], 32
	v_cvt_f64_u32_e32 v[2:3], v4
	v_add_f64 v[2:3], v[0:1], v[2:3]
	v_mov_b64_e32 v[0:1], s[4:5]
	v_mov_b64_e32 v[12:13], s[6:7]
	v_fma_f64 v[0:1], s[12:13], v[2:3], v[0:1]
	v_fma_f64 v[2:3], s[14:15], v[2:3], v[12:13]
	s_branch .LBB15_2
.LBB15_7:
	s_endpgm
	.section	.rodata,"a",@progbits
	.p2align	6, 0x0
	.amdhsa_kernel _ZN12_GLOBAL__N_141elementwise_kernel_with_index_grid_strideIlZZZN2at6native17linspace_cuda_outERKN3c106ScalarES6_lRNS1_6TensorEENKUlvE0_clEvENKUlvE1_clEvEUllE_EEvT_T0_PN15function_traitsISD_E11result_typeE
		.amdhsa_group_segment_fixed_size 0
		.amdhsa_private_segment_fixed_size 0
		.amdhsa_kernarg_size 360
		.amdhsa_user_sgpr_count 2
		.amdhsa_user_sgpr_dispatch_ptr 0
		.amdhsa_user_sgpr_queue_ptr 0
		.amdhsa_user_sgpr_kernarg_segment_ptr 1
		.amdhsa_user_sgpr_dispatch_id 0
		.amdhsa_user_sgpr_kernarg_preload_length 0
		.amdhsa_user_sgpr_kernarg_preload_offset 0
		.amdhsa_user_sgpr_private_segment_size 0
		.amdhsa_uses_dynamic_stack 0
		.amdhsa_enable_private_segment 0
		.amdhsa_system_sgpr_workgroup_id_x 1
		.amdhsa_system_sgpr_workgroup_id_y 0
		.amdhsa_system_sgpr_workgroup_id_z 0
		.amdhsa_system_sgpr_workgroup_info 0
		.amdhsa_system_vgpr_workitem_id 0
		.amdhsa_next_free_vgpr 14
		.amdhsa_next_free_sgpr 26
		.amdhsa_accum_offset 16
		.amdhsa_reserve_vcc 1
		.amdhsa_float_round_mode_32 0
		.amdhsa_float_round_mode_16_64 0
		.amdhsa_float_denorm_mode_32 3
		.amdhsa_float_denorm_mode_16_64 3
		.amdhsa_dx10_clamp 1
		.amdhsa_ieee_mode 1
		.amdhsa_fp16_overflow 0
		.amdhsa_tg_split 0
		.amdhsa_exception_fp_ieee_invalid_op 0
		.amdhsa_exception_fp_denorm_src 0
		.amdhsa_exception_fp_ieee_div_zero 0
		.amdhsa_exception_fp_ieee_overflow 0
		.amdhsa_exception_fp_ieee_underflow 0
		.amdhsa_exception_fp_ieee_inexact 0
		.amdhsa_exception_int_div_zero 0
	.end_amdhsa_kernel
	.section	.text._ZN12_GLOBAL__N_141elementwise_kernel_with_index_grid_strideIlZZZN2at6native17linspace_cuda_outERKN3c106ScalarES6_lRNS1_6TensorEENKUlvE0_clEvENKUlvE1_clEvEUllE_EEvT_T0_PN15function_traitsISD_E11result_typeE,"axG",@progbits,_ZN12_GLOBAL__N_141elementwise_kernel_with_index_grid_strideIlZZZN2at6native17linspace_cuda_outERKN3c106ScalarES6_lRNS1_6TensorEENKUlvE0_clEvENKUlvE1_clEvEUllE_EEvT_T0_PN15function_traitsISD_E11result_typeE,comdat
.Lfunc_end15:
	.size	_ZN12_GLOBAL__N_141elementwise_kernel_with_index_grid_strideIlZZZN2at6native17linspace_cuda_outERKN3c106ScalarES6_lRNS1_6TensorEENKUlvE0_clEvENKUlvE1_clEvEUllE_EEvT_T0_PN15function_traitsISD_E11result_typeE, .Lfunc_end15-_ZN12_GLOBAL__N_141elementwise_kernel_with_index_grid_strideIlZZZN2at6native17linspace_cuda_outERKN3c106ScalarES6_lRNS1_6TensorEENKUlvE0_clEvENKUlvE1_clEvEUllE_EEvT_T0_PN15function_traitsISD_E11result_typeE
                                        ; -- End function
	.set _ZN12_GLOBAL__N_141elementwise_kernel_with_index_grid_strideIlZZZN2at6native17linspace_cuda_outERKN3c106ScalarES6_lRNS1_6TensorEENKUlvE0_clEvENKUlvE1_clEvEUllE_EEvT_T0_PN15function_traitsISD_E11result_typeE.num_vgpr, 14
	.set _ZN12_GLOBAL__N_141elementwise_kernel_with_index_grid_strideIlZZZN2at6native17linspace_cuda_outERKN3c106ScalarES6_lRNS1_6TensorEENKUlvE0_clEvENKUlvE1_clEvEUllE_EEvT_T0_PN15function_traitsISD_E11result_typeE.num_agpr, 0
	.set _ZN12_GLOBAL__N_141elementwise_kernel_with_index_grid_strideIlZZZN2at6native17linspace_cuda_outERKN3c106ScalarES6_lRNS1_6TensorEENKUlvE0_clEvENKUlvE1_clEvEUllE_EEvT_T0_PN15function_traitsISD_E11result_typeE.numbered_sgpr, 26
	.set _ZN12_GLOBAL__N_141elementwise_kernel_with_index_grid_strideIlZZZN2at6native17linspace_cuda_outERKN3c106ScalarES6_lRNS1_6TensorEENKUlvE0_clEvENKUlvE1_clEvEUllE_EEvT_T0_PN15function_traitsISD_E11result_typeE.num_named_barrier, 0
	.set _ZN12_GLOBAL__N_141elementwise_kernel_with_index_grid_strideIlZZZN2at6native17linspace_cuda_outERKN3c106ScalarES6_lRNS1_6TensorEENKUlvE0_clEvENKUlvE1_clEvEUllE_EEvT_T0_PN15function_traitsISD_E11result_typeE.private_seg_size, 0
	.set _ZN12_GLOBAL__N_141elementwise_kernel_with_index_grid_strideIlZZZN2at6native17linspace_cuda_outERKN3c106ScalarES6_lRNS1_6TensorEENKUlvE0_clEvENKUlvE1_clEvEUllE_EEvT_T0_PN15function_traitsISD_E11result_typeE.uses_vcc, 1
	.set _ZN12_GLOBAL__N_141elementwise_kernel_with_index_grid_strideIlZZZN2at6native17linspace_cuda_outERKN3c106ScalarES6_lRNS1_6TensorEENKUlvE0_clEvENKUlvE1_clEvEUllE_EEvT_T0_PN15function_traitsISD_E11result_typeE.uses_flat_scratch, 0
	.set _ZN12_GLOBAL__N_141elementwise_kernel_with_index_grid_strideIlZZZN2at6native17linspace_cuda_outERKN3c106ScalarES6_lRNS1_6TensorEENKUlvE0_clEvENKUlvE1_clEvEUllE_EEvT_T0_PN15function_traitsISD_E11result_typeE.has_dyn_sized_stack, 0
	.set _ZN12_GLOBAL__N_141elementwise_kernel_with_index_grid_strideIlZZZN2at6native17linspace_cuda_outERKN3c106ScalarES6_lRNS1_6TensorEENKUlvE0_clEvENKUlvE1_clEvEUllE_EEvT_T0_PN15function_traitsISD_E11result_typeE.has_recursion, 0
	.set _ZN12_GLOBAL__N_141elementwise_kernel_with_index_grid_strideIlZZZN2at6native17linspace_cuda_outERKN3c106ScalarES6_lRNS1_6TensorEENKUlvE0_clEvENKUlvE1_clEvEUllE_EEvT_T0_PN15function_traitsISD_E11result_typeE.has_indirect_call, 0
	.section	.AMDGPU.csdata,"",@progbits
; Kernel info:
; codeLenInByte = 356
; TotalNumSgprs: 32
; NumVgprs: 14
; NumAgprs: 0
; TotalNumVgprs: 14
; ScratchSize: 0
; MemoryBound: 0
; FloatMode: 240
; IeeeMode: 1
; LDSByteSize: 0 bytes/workgroup (compile time only)
; SGPRBlocks: 3
; VGPRBlocks: 1
; NumSGPRsForWavesPerEU: 32
; NumVGPRsForWavesPerEU: 14
; AccumOffset: 16
; Occupancy: 8
; WaveLimiterHint : 1
; COMPUTE_PGM_RSRC2:SCRATCH_EN: 0
; COMPUTE_PGM_RSRC2:USER_SGPR: 2
; COMPUTE_PGM_RSRC2:TRAP_HANDLER: 0
; COMPUTE_PGM_RSRC2:TGID_X_EN: 1
; COMPUTE_PGM_RSRC2:TGID_Y_EN: 0
; COMPUTE_PGM_RSRC2:TGID_Z_EN: 0
; COMPUTE_PGM_RSRC2:TIDIG_COMP_CNT: 0
; COMPUTE_PGM_RSRC3_GFX90A:ACCUM_OFFSET: 3
; COMPUTE_PGM_RSRC3_GFX90A:TG_SPLIT: 0
	.section	.text._ZN12_GLOBAL__N_141elementwise_kernel_with_index_grid_strideIiZZZN2at6native17linspace_cuda_outERKN3c106ScalarES6_lRNS1_6TensorEENKUlvE0_clEvENKUlvE2_clEvEUllE_EEvT_T0_PN15function_traitsISD_E11result_typeE,"axG",@progbits,_ZN12_GLOBAL__N_141elementwise_kernel_with_index_grid_strideIiZZZN2at6native17linspace_cuda_outERKN3c106ScalarES6_lRNS1_6TensorEENKUlvE0_clEvENKUlvE2_clEvEUllE_EEvT_T0_PN15function_traitsISD_E11result_typeE,comdat
	.globl	_ZN12_GLOBAL__N_141elementwise_kernel_with_index_grid_strideIiZZZN2at6native17linspace_cuda_outERKN3c106ScalarES6_lRNS1_6TensorEENKUlvE0_clEvENKUlvE2_clEvEUllE_EEvT_T0_PN15function_traitsISD_E11result_typeE ; -- Begin function _ZN12_GLOBAL__N_141elementwise_kernel_with_index_grid_strideIiZZZN2at6native17linspace_cuda_outERKN3c106ScalarES6_lRNS1_6TensorEENKUlvE0_clEvENKUlvE2_clEvEUllE_EEvT_T0_PN15function_traitsISD_E11result_typeE
	.p2align	8
	.type	_ZN12_GLOBAL__N_141elementwise_kernel_with_index_grid_strideIiZZZN2at6native17linspace_cuda_outERKN3c106ScalarES6_lRNS1_6TensorEENKUlvE0_clEvENKUlvE2_clEvEUllE_EEvT_T0_PN15function_traitsISD_E11result_typeE,@function
_ZN12_GLOBAL__N_141elementwise_kernel_with_index_grid_strideIiZZZN2at6native17linspace_cuda_outERKN3c106ScalarES6_lRNS1_6TensorEENKUlvE0_clEvENKUlvE2_clEvEUllE_EEvT_T0_PN15function_traitsISD_E11result_typeE: ; @_ZN12_GLOBAL__N_141elementwise_kernel_with_index_grid_strideIiZZZN2at6native17linspace_cuda_outERKN3c106ScalarES6_lRNS1_6TensorEENKUlvE0_clEvENKUlvE2_clEvEUllE_EEvT_T0_PN15function_traitsISD_E11result_typeE
; %bb.0:
	s_load_dword s3, s[0:1], 0x44
	s_load_dword s18, s[0:1], 0x0
	s_add_u32 s16, s0, 56
	s_addc_u32 s17, s1, 0
	s_waitcnt lgkmcnt(0)
	s_and_b32 s3, s3, 0xffff
	s_mul_i32 s2, s2, s3
	v_add_u32_e32 v0, s2, v0
	v_cmp_gt_i32_e32 vcc, s18, v0
	s_and_saveexec_b64 s[4:5], vcc
	s_cbranch_execz .LBB16_7
; %bb.1:
	s_load_dwordx8 s[4:11], s[0:1], 0x18
	s_load_dword s2, s[16:17], 0x0
	s_load_dwordx4 s[12:15], s[0:1], 0x8
	v_ashrrev_i32_e32 v1, 31, v0
	v_not_b32_e32 v3, v1
	s_waitcnt lgkmcnt(0)
	v_mov_b32_e32 v4, s10
	s_mul_i32 s0, s2, s3
	v_mov_b32_e32 v5, s11
	v_not_b32_e32 v2, v0
	s_ashr_i32 s1, s0, 31
	v_lshl_add_u64 v[2:3], v[2:3], 0, s[4:5]
	v_lshl_add_u64 v[4:5], v[0:1], 3, v[4:5]
	s_lshl_b64 s[2:3], s[0:1], 3
	s_mov_b64 s[4:5], 0
	v_mov_b32_e32 v8, s1
	s_branch .LBB16_3
.LBB16_2:                               ;   in Loop: Header=BB16_3 Depth=1
	s_or_b64 exec, exec, s[10:11]
	v_subrev_co_u32_e32 v2, vcc, s0, v2
	v_lshl_add_u64 v[0:1], v[0:1], 0, s[0:1]
	s_nop 0
	v_subb_co_u32_e32 v3, vcc, v3, v8, vcc
	v_cmp_le_i32_e32 vcc, s18, v0
	global_store_dwordx2 v[4:5], v[6:7], off
	s_or_b64 s[4:5], vcc, s[4:5]
	v_lshl_add_u64 v[4:5], v[4:5], 0, s[2:3]
	s_andn2_b64 exec, exec, s[4:5]
	s_cbranch_execz .LBB16_7
.LBB16_3:                               ; =>This Inner Loop Header: Depth=1
	v_cmp_le_i64_e32 vcc, s[8:9], v[0:1]
                                        ; implicit-def: $vgpr6_vgpr7
	s_and_saveexec_b64 s[10:11], vcc
	s_xor_b64 s[10:11], exec, s[10:11]
	s_cbranch_execz .LBB16_5
; %bb.4:                                ;   in Loop: Header=BB16_3 Depth=1
	v_xor_b32_e32 v7, v2, v3
	v_ffbh_i32_e32 v6, v3
	v_ashrrev_i32_e32 v7, 31, v7
	v_add_u32_e32 v6, -1, v6
	v_add_u32_e32 v7, 32, v7
	v_min_u32_e32 v9, v6, v7
	v_lshlrev_b64 v[6:7], v9, v[2:3]
	v_min_u32_e32 v6, 1, v6
	v_or_b32_e32 v6, v7, v6
	v_cvt_f32_i32_e32 v6, v6
	v_sub_u32_e32 v7, 32, v9
	v_mov_b64_e32 v[10:11], s[14:15]
	v_ldexp_f32 v6, v6, v7
	v_pk_fma_f32 v[6:7], v[6:7], s[6:7], v[10:11] op_sel_hi:[0,1,1] neg_lo:[1,0,0] neg_hi:[1,0,0]
.LBB16_5:                               ;   in Loop: Header=BB16_3 Depth=1
	s_andn2_saveexec_b64 s[10:11], s[10:11]
	s_cbranch_execz .LBB16_2
; %bb.6:                                ;   in Loop: Header=BB16_3 Depth=1
	v_cvt_f32_i32_e32 v6, v0
	v_mov_b64_e32 v[10:11], s[12:13]
	v_pk_fma_f32 v[6:7], v[6:7], s[6:7], v[10:11] op_sel_hi:[0,1,1]
	s_branch .LBB16_2
.LBB16_7:
	s_endpgm
	.section	.rodata,"a",@progbits
	.p2align	6, 0x0
	.amdhsa_kernel _ZN12_GLOBAL__N_141elementwise_kernel_with_index_grid_strideIiZZZN2at6native17linspace_cuda_outERKN3c106ScalarES6_lRNS1_6TensorEENKUlvE0_clEvENKUlvE2_clEvEUllE_EEvT_T0_PN15function_traitsISD_E11result_typeE
		.amdhsa_group_segment_fixed_size 0
		.amdhsa_private_segment_fixed_size 0
		.amdhsa_kernarg_size 312
		.amdhsa_user_sgpr_count 2
		.amdhsa_user_sgpr_dispatch_ptr 0
		.amdhsa_user_sgpr_queue_ptr 0
		.amdhsa_user_sgpr_kernarg_segment_ptr 1
		.amdhsa_user_sgpr_dispatch_id 0
		.amdhsa_user_sgpr_kernarg_preload_length 0
		.amdhsa_user_sgpr_kernarg_preload_offset 0
		.amdhsa_user_sgpr_private_segment_size 0
		.amdhsa_uses_dynamic_stack 0
		.amdhsa_enable_private_segment 0
		.amdhsa_system_sgpr_workgroup_id_x 1
		.amdhsa_system_sgpr_workgroup_id_y 0
		.amdhsa_system_sgpr_workgroup_id_z 0
		.amdhsa_system_sgpr_workgroup_info 0
		.amdhsa_system_vgpr_workitem_id 0
		.amdhsa_next_free_vgpr 12
		.amdhsa_next_free_sgpr 19
		.amdhsa_accum_offset 12
		.amdhsa_reserve_vcc 1
		.amdhsa_float_round_mode_32 0
		.amdhsa_float_round_mode_16_64 0
		.amdhsa_float_denorm_mode_32 3
		.amdhsa_float_denorm_mode_16_64 3
		.amdhsa_dx10_clamp 1
		.amdhsa_ieee_mode 1
		.amdhsa_fp16_overflow 0
		.amdhsa_tg_split 0
		.amdhsa_exception_fp_ieee_invalid_op 0
		.amdhsa_exception_fp_denorm_src 0
		.amdhsa_exception_fp_ieee_div_zero 0
		.amdhsa_exception_fp_ieee_overflow 0
		.amdhsa_exception_fp_ieee_underflow 0
		.amdhsa_exception_fp_ieee_inexact 0
		.amdhsa_exception_int_div_zero 0
	.end_amdhsa_kernel
	.section	.text._ZN12_GLOBAL__N_141elementwise_kernel_with_index_grid_strideIiZZZN2at6native17linspace_cuda_outERKN3c106ScalarES6_lRNS1_6TensorEENKUlvE0_clEvENKUlvE2_clEvEUllE_EEvT_T0_PN15function_traitsISD_E11result_typeE,"axG",@progbits,_ZN12_GLOBAL__N_141elementwise_kernel_with_index_grid_strideIiZZZN2at6native17linspace_cuda_outERKN3c106ScalarES6_lRNS1_6TensorEENKUlvE0_clEvENKUlvE2_clEvEUllE_EEvT_T0_PN15function_traitsISD_E11result_typeE,comdat
.Lfunc_end16:
	.size	_ZN12_GLOBAL__N_141elementwise_kernel_with_index_grid_strideIiZZZN2at6native17linspace_cuda_outERKN3c106ScalarES6_lRNS1_6TensorEENKUlvE0_clEvENKUlvE2_clEvEUllE_EEvT_T0_PN15function_traitsISD_E11result_typeE, .Lfunc_end16-_ZN12_GLOBAL__N_141elementwise_kernel_with_index_grid_strideIiZZZN2at6native17linspace_cuda_outERKN3c106ScalarES6_lRNS1_6TensorEENKUlvE0_clEvENKUlvE2_clEvEUllE_EEvT_T0_PN15function_traitsISD_E11result_typeE
                                        ; -- End function
	.set _ZN12_GLOBAL__N_141elementwise_kernel_with_index_grid_strideIiZZZN2at6native17linspace_cuda_outERKN3c106ScalarES6_lRNS1_6TensorEENKUlvE0_clEvENKUlvE2_clEvEUllE_EEvT_T0_PN15function_traitsISD_E11result_typeE.num_vgpr, 12
	.set _ZN12_GLOBAL__N_141elementwise_kernel_with_index_grid_strideIiZZZN2at6native17linspace_cuda_outERKN3c106ScalarES6_lRNS1_6TensorEENKUlvE0_clEvENKUlvE2_clEvEUllE_EEvT_T0_PN15function_traitsISD_E11result_typeE.num_agpr, 0
	.set _ZN12_GLOBAL__N_141elementwise_kernel_with_index_grid_strideIiZZZN2at6native17linspace_cuda_outERKN3c106ScalarES6_lRNS1_6TensorEENKUlvE0_clEvENKUlvE2_clEvEUllE_EEvT_T0_PN15function_traitsISD_E11result_typeE.numbered_sgpr, 19
	.set _ZN12_GLOBAL__N_141elementwise_kernel_with_index_grid_strideIiZZZN2at6native17linspace_cuda_outERKN3c106ScalarES6_lRNS1_6TensorEENKUlvE0_clEvENKUlvE2_clEvEUllE_EEvT_T0_PN15function_traitsISD_E11result_typeE.num_named_barrier, 0
	.set _ZN12_GLOBAL__N_141elementwise_kernel_with_index_grid_strideIiZZZN2at6native17linspace_cuda_outERKN3c106ScalarES6_lRNS1_6TensorEENKUlvE0_clEvENKUlvE2_clEvEUllE_EEvT_T0_PN15function_traitsISD_E11result_typeE.private_seg_size, 0
	.set _ZN12_GLOBAL__N_141elementwise_kernel_with_index_grid_strideIiZZZN2at6native17linspace_cuda_outERKN3c106ScalarES6_lRNS1_6TensorEENKUlvE0_clEvENKUlvE2_clEvEUllE_EEvT_T0_PN15function_traitsISD_E11result_typeE.uses_vcc, 1
	.set _ZN12_GLOBAL__N_141elementwise_kernel_with_index_grid_strideIiZZZN2at6native17linspace_cuda_outERKN3c106ScalarES6_lRNS1_6TensorEENKUlvE0_clEvENKUlvE2_clEvEUllE_EEvT_T0_PN15function_traitsISD_E11result_typeE.uses_flat_scratch, 0
	.set _ZN12_GLOBAL__N_141elementwise_kernel_with_index_grid_strideIiZZZN2at6native17linspace_cuda_outERKN3c106ScalarES6_lRNS1_6TensorEENKUlvE0_clEvENKUlvE2_clEvEUllE_EEvT_T0_PN15function_traitsISD_E11result_typeE.has_dyn_sized_stack, 0
	.set _ZN12_GLOBAL__N_141elementwise_kernel_with_index_grid_strideIiZZZN2at6native17linspace_cuda_outERKN3c106ScalarES6_lRNS1_6TensorEENKUlvE0_clEvENKUlvE2_clEvEUllE_EEvT_T0_PN15function_traitsISD_E11result_typeE.has_recursion, 0
	.set _ZN12_GLOBAL__N_141elementwise_kernel_with_index_grid_strideIiZZZN2at6native17linspace_cuda_outERKN3c106ScalarES6_lRNS1_6TensorEENKUlvE0_clEvENKUlvE2_clEvEUllE_EEvT_T0_PN15function_traitsISD_E11result_typeE.has_indirect_call, 0
	.section	.AMDGPU.csdata,"",@progbits
; Kernel info:
; codeLenInByte = 316
; TotalNumSgprs: 25
; NumVgprs: 12
; NumAgprs: 0
; TotalNumVgprs: 12
; ScratchSize: 0
; MemoryBound: 0
; FloatMode: 240
; IeeeMode: 1
; LDSByteSize: 0 bytes/workgroup (compile time only)
; SGPRBlocks: 3
; VGPRBlocks: 1
; NumSGPRsForWavesPerEU: 25
; NumVGPRsForWavesPerEU: 12
; AccumOffset: 12
; Occupancy: 8
; WaveLimiterHint : 0
; COMPUTE_PGM_RSRC2:SCRATCH_EN: 0
; COMPUTE_PGM_RSRC2:USER_SGPR: 2
; COMPUTE_PGM_RSRC2:TRAP_HANDLER: 0
; COMPUTE_PGM_RSRC2:TGID_X_EN: 1
; COMPUTE_PGM_RSRC2:TGID_Y_EN: 0
; COMPUTE_PGM_RSRC2:TGID_Z_EN: 0
; COMPUTE_PGM_RSRC2:TIDIG_COMP_CNT: 0
; COMPUTE_PGM_RSRC3_GFX90A:ACCUM_OFFSET: 2
; COMPUTE_PGM_RSRC3_GFX90A:TG_SPLIT: 0
	.section	.text._ZN12_GLOBAL__N_141elementwise_kernel_with_index_grid_strideIlZZZN2at6native17linspace_cuda_outERKN3c106ScalarES6_lRNS1_6TensorEENKUlvE0_clEvENKUlvE2_clEvEUllE_EEvT_T0_PN15function_traitsISD_E11result_typeE,"axG",@progbits,_ZN12_GLOBAL__N_141elementwise_kernel_with_index_grid_strideIlZZZN2at6native17linspace_cuda_outERKN3c106ScalarES6_lRNS1_6TensorEENKUlvE0_clEvENKUlvE2_clEvEUllE_EEvT_T0_PN15function_traitsISD_E11result_typeE,comdat
	.globl	_ZN12_GLOBAL__N_141elementwise_kernel_with_index_grid_strideIlZZZN2at6native17linspace_cuda_outERKN3c106ScalarES6_lRNS1_6TensorEENKUlvE0_clEvENKUlvE2_clEvEUllE_EEvT_T0_PN15function_traitsISD_E11result_typeE ; -- Begin function _ZN12_GLOBAL__N_141elementwise_kernel_with_index_grid_strideIlZZZN2at6native17linspace_cuda_outERKN3c106ScalarES6_lRNS1_6TensorEENKUlvE0_clEvENKUlvE2_clEvEUllE_EEvT_T0_PN15function_traitsISD_E11result_typeE
	.p2align	8
	.type	_ZN12_GLOBAL__N_141elementwise_kernel_with_index_grid_strideIlZZZN2at6native17linspace_cuda_outERKN3c106ScalarES6_lRNS1_6TensorEENKUlvE0_clEvENKUlvE2_clEvEUllE_EEvT_T0_PN15function_traitsISD_E11result_typeE,@function
_ZN12_GLOBAL__N_141elementwise_kernel_with_index_grid_strideIlZZZN2at6native17linspace_cuda_outERKN3c106ScalarES6_lRNS1_6TensorEENKUlvE0_clEvENKUlvE2_clEvEUllE_EEvT_T0_PN15function_traitsISD_E11result_typeE: ; @_ZN12_GLOBAL__N_141elementwise_kernel_with_index_grid_strideIlZZZN2at6native17linspace_cuda_outERKN3c106ScalarES6_lRNS1_6TensorEENKUlvE0_clEvENKUlvE2_clEvEUllE_EEvT_T0_PN15function_traitsISD_E11result_typeE
; %bb.0:
	s_load_dword s3, s[0:1], 0x44
	s_load_dwordx2 s[16:17], s[0:1], 0x0
	s_add_u32 s18, s0, 56
	s_addc_u32 s19, s1, 0
	v_mov_b32_e32 v1, 0
	s_waitcnt lgkmcnt(0)
	s_and_b32 s3, s3, 0xffff
	v_mov_b32_e32 v2, s2
	v_mad_u64_u32 v[0:1], s[4:5], s3, v2, v[0:1]
	v_cmp_gt_i64_e32 vcc, s[16:17], v[0:1]
	s_and_saveexec_b64 s[4:5], vcc
	s_cbranch_execz .LBB17_7
; %bb.1:
	s_load_dwordx8 s[4:11], s[0:1], 0x18
	s_load_dword s2, s[18:19], 0x0
	s_load_dwordx4 s[12:15], s[0:1], 0x8
	v_not_b32_e32 v3, v1
	v_not_b32_e32 v2, v0
	s_waitcnt lgkmcnt(0)
	v_mov_b32_e32 v4, s10
	v_mov_b32_e32 v5, s11
	s_mul_hi_u32 s1, s3, s2
	s_mul_i32 s0, s3, s2
	v_lshl_add_u64 v[2:3], v[2:3], 0, s[4:5]
	v_lshl_add_u64 v[4:5], v[0:1], 3, v[4:5]
	s_lshl_b64 s[2:3], s[0:1], 3
	s_mov_b64 s[4:5], 0
	v_mov_b32_e32 v8, s1
	s_branch .LBB17_3
.LBB17_2:                               ;   in Loop: Header=BB17_3 Depth=1
	s_or_b64 exec, exec, s[10:11]
	v_subrev_co_u32_e32 v2, vcc, s0, v2
	v_lshl_add_u64 v[0:1], v[0:1], 0, s[0:1]
	s_nop 0
	v_subb_co_u32_e32 v3, vcc, v3, v8, vcc
	v_cmp_le_i64_e32 vcc, s[16:17], v[0:1]
	global_store_dwordx2 v[4:5], v[6:7], off
	s_or_b64 s[4:5], vcc, s[4:5]
	v_lshl_add_u64 v[4:5], v[4:5], 0, s[2:3]
	s_andn2_b64 exec, exec, s[4:5]
	s_cbranch_execz .LBB17_7
.LBB17_3:                               ; =>This Inner Loop Header: Depth=1
	v_cmp_le_i64_e32 vcc, s[8:9], v[0:1]
                                        ; implicit-def: $vgpr6_vgpr7
	s_and_saveexec_b64 s[10:11], vcc
	s_xor_b64 s[10:11], exec, s[10:11]
	s_cbranch_execz .LBB17_5
; %bb.4:                                ;   in Loop: Header=BB17_3 Depth=1
	v_xor_b32_e32 v7, v2, v3
	v_ffbh_i32_e32 v6, v3
	v_ashrrev_i32_e32 v7, 31, v7
	v_add_u32_e32 v6, -1, v6
	v_add_u32_e32 v7, 32, v7
	v_min_u32_e32 v9, v6, v7
	v_lshlrev_b64 v[6:7], v9, v[2:3]
	v_min_u32_e32 v6, 1, v6
	v_or_b32_e32 v6, v7, v6
	v_cvt_f32_i32_e32 v6, v6
	v_sub_u32_e32 v7, 32, v9
	v_mov_b64_e32 v[10:11], s[14:15]
	v_ldexp_f32 v6, v6, v7
	v_pk_fma_f32 v[6:7], v[6:7], s[6:7], v[10:11] op_sel_hi:[0,1,1] neg_lo:[1,0,0] neg_hi:[1,0,0]
.LBB17_5:                               ;   in Loop: Header=BB17_3 Depth=1
	s_andn2_saveexec_b64 s[10:11], s[10:11]
	s_cbranch_execz .LBB17_2
; %bb.6:                                ;   in Loop: Header=BB17_3 Depth=1
	v_ffbh_u32_e32 v6, v1
	v_min_u32_e32 v9, 32, v6
	v_lshlrev_b64 v[6:7], v9, v[0:1]
	v_min_u32_e32 v6, 1, v6
	v_or_b32_e32 v6, v7, v6
	v_cvt_f32_u32_e32 v6, v6
	v_sub_u32_e32 v7, 32, v9
	v_mov_b64_e32 v[10:11], s[12:13]
	v_ldexp_f32 v6, v6, v7
	v_pk_fma_f32 v[6:7], v[6:7], s[6:7], v[10:11] op_sel_hi:[0,1,1]
	s_branch .LBB17_2
.LBB17_7:
	s_endpgm
	.section	.rodata,"a",@progbits
	.p2align	6, 0x0
	.amdhsa_kernel _ZN12_GLOBAL__N_141elementwise_kernel_with_index_grid_strideIlZZZN2at6native17linspace_cuda_outERKN3c106ScalarES6_lRNS1_6TensorEENKUlvE0_clEvENKUlvE2_clEvEUllE_EEvT_T0_PN15function_traitsISD_E11result_typeE
		.amdhsa_group_segment_fixed_size 0
		.amdhsa_private_segment_fixed_size 0
		.amdhsa_kernarg_size 312
		.amdhsa_user_sgpr_count 2
		.amdhsa_user_sgpr_dispatch_ptr 0
		.amdhsa_user_sgpr_queue_ptr 0
		.amdhsa_user_sgpr_kernarg_segment_ptr 1
		.amdhsa_user_sgpr_dispatch_id 0
		.amdhsa_user_sgpr_kernarg_preload_length 0
		.amdhsa_user_sgpr_kernarg_preload_offset 0
		.amdhsa_user_sgpr_private_segment_size 0
		.amdhsa_uses_dynamic_stack 0
		.amdhsa_enable_private_segment 0
		.amdhsa_system_sgpr_workgroup_id_x 1
		.amdhsa_system_sgpr_workgroup_id_y 0
		.amdhsa_system_sgpr_workgroup_id_z 0
		.amdhsa_system_sgpr_workgroup_info 0
		.amdhsa_system_vgpr_workitem_id 0
		.amdhsa_next_free_vgpr 12
		.amdhsa_next_free_sgpr 20
		.amdhsa_accum_offset 12
		.amdhsa_reserve_vcc 1
		.amdhsa_float_round_mode_32 0
		.amdhsa_float_round_mode_16_64 0
		.amdhsa_float_denorm_mode_32 3
		.amdhsa_float_denorm_mode_16_64 3
		.amdhsa_dx10_clamp 1
		.amdhsa_ieee_mode 1
		.amdhsa_fp16_overflow 0
		.amdhsa_tg_split 0
		.amdhsa_exception_fp_ieee_invalid_op 0
		.amdhsa_exception_fp_denorm_src 0
		.amdhsa_exception_fp_ieee_div_zero 0
		.amdhsa_exception_fp_ieee_overflow 0
		.amdhsa_exception_fp_ieee_underflow 0
		.amdhsa_exception_fp_ieee_inexact 0
		.amdhsa_exception_int_div_zero 0
	.end_amdhsa_kernel
	.section	.text._ZN12_GLOBAL__N_141elementwise_kernel_with_index_grid_strideIlZZZN2at6native17linspace_cuda_outERKN3c106ScalarES6_lRNS1_6TensorEENKUlvE0_clEvENKUlvE2_clEvEUllE_EEvT_T0_PN15function_traitsISD_E11result_typeE,"axG",@progbits,_ZN12_GLOBAL__N_141elementwise_kernel_with_index_grid_strideIlZZZN2at6native17linspace_cuda_outERKN3c106ScalarES6_lRNS1_6TensorEENKUlvE0_clEvENKUlvE2_clEvEUllE_EEvT_T0_PN15function_traitsISD_E11result_typeE,comdat
.Lfunc_end17:
	.size	_ZN12_GLOBAL__N_141elementwise_kernel_with_index_grid_strideIlZZZN2at6native17linspace_cuda_outERKN3c106ScalarES6_lRNS1_6TensorEENKUlvE0_clEvENKUlvE2_clEvEUllE_EEvT_T0_PN15function_traitsISD_E11result_typeE, .Lfunc_end17-_ZN12_GLOBAL__N_141elementwise_kernel_with_index_grid_strideIlZZZN2at6native17linspace_cuda_outERKN3c106ScalarES6_lRNS1_6TensorEENKUlvE0_clEvENKUlvE2_clEvEUllE_EEvT_T0_PN15function_traitsISD_E11result_typeE
                                        ; -- End function
	.set _ZN12_GLOBAL__N_141elementwise_kernel_with_index_grid_strideIlZZZN2at6native17linspace_cuda_outERKN3c106ScalarES6_lRNS1_6TensorEENKUlvE0_clEvENKUlvE2_clEvEUllE_EEvT_T0_PN15function_traitsISD_E11result_typeE.num_vgpr, 12
	.set _ZN12_GLOBAL__N_141elementwise_kernel_with_index_grid_strideIlZZZN2at6native17linspace_cuda_outERKN3c106ScalarES6_lRNS1_6TensorEENKUlvE0_clEvENKUlvE2_clEvEUllE_EEvT_T0_PN15function_traitsISD_E11result_typeE.num_agpr, 0
	.set _ZN12_GLOBAL__N_141elementwise_kernel_with_index_grid_strideIlZZZN2at6native17linspace_cuda_outERKN3c106ScalarES6_lRNS1_6TensorEENKUlvE0_clEvENKUlvE2_clEvEUllE_EEvT_T0_PN15function_traitsISD_E11result_typeE.numbered_sgpr, 20
	.set _ZN12_GLOBAL__N_141elementwise_kernel_with_index_grid_strideIlZZZN2at6native17linspace_cuda_outERKN3c106ScalarES6_lRNS1_6TensorEENKUlvE0_clEvENKUlvE2_clEvEUllE_EEvT_T0_PN15function_traitsISD_E11result_typeE.num_named_barrier, 0
	.set _ZN12_GLOBAL__N_141elementwise_kernel_with_index_grid_strideIlZZZN2at6native17linspace_cuda_outERKN3c106ScalarES6_lRNS1_6TensorEENKUlvE0_clEvENKUlvE2_clEvEUllE_EEvT_T0_PN15function_traitsISD_E11result_typeE.private_seg_size, 0
	.set _ZN12_GLOBAL__N_141elementwise_kernel_with_index_grid_strideIlZZZN2at6native17linspace_cuda_outERKN3c106ScalarES6_lRNS1_6TensorEENKUlvE0_clEvENKUlvE2_clEvEUllE_EEvT_T0_PN15function_traitsISD_E11result_typeE.uses_vcc, 1
	.set _ZN12_GLOBAL__N_141elementwise_kernel_with_index_grid_strideIlZZZN2at6native17linspace_cuda_outERKN3c106ScalarES6_lRNS1_6TensorEENKUlvE0_clEvENKUlvE2_clEvEUllE_EEvT_T0_PN15function_traitsISD_E11result_typeE.uses_flat_scratch, 0
	.set _ZN12_GLOBAL__N_141elementwise_kernel_with_index_grid_strideIlZZZN2at6native17linspace_cuda_outERKN3c106ScalarES6_lRNS1_6TensorEENKUlvE0_clEvENKUlvE2_clEvEUllE_EEvT_T0_PN15function_traitsISD_E11result_typeE.has_dyn_sized_stack, 0
	.set _ZN12_GLOBAL__N_141elementwise_kernel_with_index_grid_strideIlZZZN2at6native17linspace_cuda_outERKN3c106ScalarES6_lRNS1_6TensorEENKUlvE0_clEvENKUlvE2_clEvEUllE_EEvT_T0_PN15function_traitsISD_E11result_typeE.has_recursion, 0
	.set _ZN12_GLOBAL__N_141elementwise_kernel_with_index_grid_strideIlZZZN2at6native17linspace_cuda_outERKN3c106ScalarES6_lRNS1_6TensorEENKUlvE0_clEvENKUlvE2_clEvEUllE_EEvT_T0_PN15function_traitsISD_E11result_typeE.has_indirect_call, 0
	.section	.AMDGPU.csdata,"",@progbits
; Kernel info:
; codeLenInByte = 356
; TotalNumSgprs: 26
; NumVgprs: 12
; NumAgprs: 0
; TotalNumVgprs: 12
; ScratchSize: 0
; MemoryBound: 0
; FloatMode: 240
; IeeeMode: 1
; LDSByteSize: 0 bytes/workgroup (compile time only)
; SGPRBlocks: 3
; VGPRBlocks: 1
; NumSGPRsForWavesPerEU: 26
; NumVGPRsForWavesPerEU: 12
; AccumOffset: 12
; Occupancy: 8
; WaveLimiterHint : 0
; COMPUTE_PGM_RSRC2:SCRATCH_EN: 0
; COMPUTE_PGM_RSRC2:USER_SGPR: 2
; COMPUTE_PGM_RSRC2:TRAP_HANDLER: 0
; COMPUTE_PGM_RSRC2:TGID_X_EN: 1
; COMPUTE_PGM_RSRC2:TGID_Y_EN: 0
; COMPUTE_PGM_RSRC2:TGID_Z_EN: 0
; COMPUTE_PGM_RSRC2:TIDIG_COMP_CNT: 0
; COMPUTE_PGM_RSRC3_GFX90A:ACCUM_OFFSET: 2
; COMPUTE_PGM_RSRC3_GFX90A:TG_SPLIT: 0
	.section	.text._ZN12_GLOBAL__N_141elementwise_kernel_with_index_grid_strideIiZZZN2at6native17linspace_cuda_outERKN3c106ScalarES6_lRNS1_6TensorEENKUlvE0_clEvENKUlvE3_clEvEUllE_EEvT_T0_PN15function_traitsISD_E11result_typeE,"axG",@progbits,_ZN12_GLOBAL__N_141elementwise_kernel_with_index_grid_strideIiZZZN2at6native17linspace_cuda_outERKN3c106ScalarES6_lRNS1_6TensorEENKUlvE0_clEvENKUlvE3_clEvEUllE_EEvT_T0_PN15function_traitsISD_E11result_typeE,comdat
	.globl	_ZN12_GLOBAL__N_141elementwise_kernel_with_index_grid_strideIiZZZN2at6native17linspace_cuda_outERKN3c106ScalarES6_lRNS1_6TensorEENKUlvE0_clEvENKUlvE3_clEvEUllE_EEvT_T0_PN15function_traitsISD_E11result_typeE ; -- Begin function _ZN12_GLOBAL__N_141elementwise_kernel_with_index_grid_strideIiZZZN2at6native17linspace_cuda_outERKN3c106ScalarES6_lRNS1_6TensorEENKUlvE0_clEvENKUlvE3_clEvEUllE_EEvT_T0_PN15function_traitsISD_E11result_typeE
	.p2align	8
	.type	_ZN12_GLOBAL__N_141elementwise_kernel_with_index_grid_strideIiZZZN2at6native17linspace_cuda_outERKN3c106ScalarES6_lRNS1_6TensorEENKUlvE0_clEvENKUlvE3_clEvEUllE_EEvT_T0_PN15function_traitsISD_E11result_typeE,@function
_ZN12_GLOBAL__N_141elementwise_kernel_with_index_grid_strideIiZZZN2at6native17linspace_cuda_outERKN3c106ScalarES6_lRNS1_6TensorEENKUlvE0_clEvENKUlvE3_clEvEUllE_EEvT_T0_PN15function_traitsISD_E11result_typeE: ; @_ZN12_GLOBAL__N_141elementwise_kernel_with_index_grid_strideIiZZZN2at6native17linspace_cuda_outERKN3c106ScalarES6_lRNS1_6TensorEENKUlvE0_clEvENKUlvE3_clEvEUllE_EEvT_T0_PN15function_traitsISD_E11result_typeE
; %bb.0:
	s_load_dword s3, s[0:1], 0x3c
	s_load_dword s30, s[0:1], 0x0
	s_add_u32 s8, s0, 48
	s_addc_u32 s9, s1, 0
	s_waitcnt lgkmcnt(0)
	s_and_b32 s3, s3, 0xffff
	s_mul_i32 s4, s2, s3
	v_add_u32_e32 v2, s4, v0
	v_cmp_gt_i32_e32 vcc, s30, v2
	s_and_saveexec_b64 s[4:5], vcc
	s_cbranch_execz .LBB18_12
; %bb.1:
	s_load_dword s12, s[8:9], 0x0
	s_load_dword s31, s[0:1], 0x8
	s_load_dwordx2 s[10:11], s[0:1], 0x10
	s_load_dword s33, s[0:1], 0x18
	s_load_dwordx4 s[4:7], s[0:1], 0x20
	s_waitcnt lgkmcnt(0)
	s_mul_i32 s8, s12, s3
	v_cvt_f32_u32_e32 v1, s8
	s_add_i32 s0, s2, s12
	s_mul_i32 s0, s0, s3
	v_add_u32_e32 v3, s0, v0
	v_rcp_iflag_f32_e32 v1, v1
	v_mov_b32_e32 v4, s0
	v_cmp_gt_i32_e32 vcc, s30, v3
	v_max_i32_e32 v5, s30, v3
	v_mul_f32_e32 v1, 0x4f7ffffe, v1
	v_cvt_u32_f32_e32 v1, v1
	v_addc_co_u32_e64 v0, s[0:1], v0, v4, vcc
	s_sub_i32 s0, 0, s8
	s_nop 0
	v_mul_lo_u32 v3, s0, v1
	v_mul_hi_u32 v3, v1, v3
	v_sub_u32_e32 v0, v5, v0
	v_add_u32_e32 v1, v1, v3
	v_mul_hi_u32 v1, v0, v1
	v_mul_lo_u32 v3, v1, s8
	v_sub_u32_e32 v0, v0, v3
	v_add_u32_e32 v3, 1, v1
	v_cmp_le_u32_e64 s[0:1], s8, v0
	s_lshr_b32 s34, s31, 16
	s_nop 0
	v_cndmask_b32_e64 v1, v1, v3, s[0:1]
	v_subrev_u32_e32 v3, s8, v0
	v_cndmask_b32_e64 v0, v0, v3, s[0:1]
	v_add_u32_e32 v3, 1, v1
	v_cmp_le_u32_e64 s[0:1], s8, v0
	s_nop 1
	v_cndmask_b32_e64 v0, v1, v3, s[0:1]
	v_addc_co_u32_e32 v0, vcc, 1, v0, vcc
	v_cmp_lt_u32_e32 vcc, 3, v0
	s_mov_b64 s[0:1], -1
	s_and_saveexec_b64 s[12:13], vcc
	s_cbranch_execz .LBB18_5
; %bb.2:
	v_add_u32_e32 v3, s8, v2
	v_mad_u64_u32 v[6:7], s[0:1], s8, 3, v[2:3]
	v_lshl_add_u32 v4, s8, 1, v2
	v_mov_b32_e32 v5, v6
	v_and_b32_e32 v1, -4, v0
	s_pack_ll_b32_b16 s9, s33, s33
	s_pack_ll_b32_b16 s2, s34, s34
	;; [unrolled: 1-line block ×3, first 2 shown]
	s_lshl_b32 s36, s8, 2
	v_mov_b64_e32 v[6:7], v[4:5]
	s_mov_b32 s14, s4
	s_mov_b32 s15, s5
	;; [unrolled: 1-line block ×18, first 2 shown]
	s_mov_b64 s[28:29], 0
	v_mov_b32_e32 v8, s2
	v_mov_b32_e32 v9, s2
	;; [unrolled: 1-line block ×5, first 2 shown]
	v_mov_b64_e32 v[4:5], v[2:3]
.LBB18_3:                               ; =>This Inner Loop Header: Depth=1
	v_not_b32_e32 v22, v6
	v_not_b32_e32 v24, v7
	;; [unrolled: 1-line block ×4, first 2 shown]
	v_cvt_f32_i32_e32 v3, v5
	v_cvt_f32_i32_e32 v13, v4
	;; [unrolled: 1-line block ×4, first 2 shown]
	v_ashrrev_i32_e32 v29, 31, v28
	v_ashrrev_i32_e32 v27, 31, v26
	;; [unrolled: 1-line block ×4, first 2 shown]
	v_lshl_add_u64 v[22:23], s[24:25], 0, v[22:23]
	v_lshl_add_u64 v[24:25], s[26:27], 0, v[24:25]
	;; [unrolled: 1-line block ×4, first 2 shown]
	v_xor_b32_e32 v40, v28, v29
	v_xor_b32_e32 v42, v26, v27
	;; [unrolled: 1-line block ×4, first 2 shown]
	v_ffbh_i32_e32 v41, v29
	v_ffbh_i32_e32 v43, v27
	;; [unrolled: 1-line block ×4, first 2 shown]
	v_ashrrev_i32_e32 v40, 31, v40
	v_ashrrev_i32_e32 v42, 31, v42
	;; [unrolled: 1-line block ×4, first 2 shown]
	v_add_u32_e32 v41, -1, v41
	v_add_u32_e32 v43, -1, v43
	;; [unrolled: 1-line block ×4, first 2 shown]
	v_cvt_pk_f16_f32 v38, v39, v38
	v_cvt_pk_f16_f32 v3, v13, v3
	v_add_u32_e32 v13, 32, v40
	v_add_u32_e32 v39, 32, v42
	v_add_u32_e32 v40, 32, v44
	v_add_u32_e32 v42, 32, v46
	v_min_u32_e32 v13, v41, v13
	v_min_u32_e32 v39, v43, v39
	;; [unrolled: 1-line block ×4, first 2 shown]
	v_lshlrev_b64 v[28:29], v13, v[28:29]
	v_lshlrev_b64 v[26:27], v39, v[26:27]
	;; [unrolled: 1-line block ×4, first 2 shown]
	v_min_u32_e32 v28, 1, v28
	v_min_u32_e32 v26, 1, v26
	;; [unrolled: 1-line block ×4, first 2 shown]
	v_or_b32_e32 v28, v29, v28
	v_or_b32_e32 v26, v27, v26
	;; [unrolled: 1-line block ×4, first 2 shown]
	v_cvt_f32_i32_e32 v23, v28
	v_cvt_f32_i32_e32 v25, v26
	;; [unrolled: 1-line block ×4, first 2 shown]
	v_sub_u32_e32 v13, 32, v13
	v_sub_u32_e32 v39, 32, v39
	;; [unrolled: 1-line block ×4, first 2 shown]
	v_add_u32_e32 v12, -4, v12
	v_ldexp_f32 v13, v23, v13
	v_ldexp_f32 v23, v25, v39
	;; [unrolled: 1-line block ×4, first 2 shown]
	v_ashrrev_i32_e32 v21, 31, v4
	v_mov_b32_e32 v20, v4
	v_cmp_eq_u32_e32 vcc, 0, v12
	v_cvt_pk_f16_f32 v22, v22, v24
	v_cvt_pk_f16_f32 v13, v23, v13
	v_ashrrev_i32_e32 v15, 31, v7
	v_mov_b32_e32 v14, v7
	v_ashrrev_i32_e32 v17, 31, v6
	v_mov_b32_e32 v16, v6
	;; [unrolled: 2-line block ×3, first 2 shown]
	v_lshl_add_u64 v[30:31], v[20:21], 1, s[6:7]
	s_or_b64 s[28:29], vcc, s[28:29]
	v_pk_fma_f16 v3, s9, v3, v10
	v_pk_fma_f16 v38, s35, v38, v11
	v_pk_fma_f16 v13, s9, v13, v8 neg_lo:[1,0,0] neg_hi:[1,0,0]
	v_cmp_gt_i64_e32 vcc, s[14:15], v[20:21]
	v_pk_fma_f16 v20, s35, v22, v9 neg_lo:[1,0,0] neg_hi:[1,0,0]
	v_add_u32_e32 v7, s39, v7
	v_add_u32_e32 v6, s38, v6
	;; [unrolled: 1-line block ×4, first 2 shown]
	v_lshl_add_u64 v[34:35], v[16:17], 1, s[6:7]
	v_lshrrev_b32_e32 v42, 16, v38
	v_lshrrev_b32_e32 v43, 16, v3
	v_cmp_gt_i64_e64 s[0:1], s[18:19], v[16:17]
	v_lshrrev_b32_e32 v16, 16, v13
	v_cmp_gt_i64_e64 s[2:3], s[16:17], v[18:19]
	v_lshrrev_b32_e32 v17, 16, v20
	v_cndmask_b32_e32 v3, v13, v3, vcc
	v_cmp_gt_i64_e32 vcc, s[20:21], v[14:15]
	v_lshl_add_u64 v[32:33], v[18:19], 1, s[6:7]
	v_lshl_add_u64 v[36:37], v[14:15], 1, s[6:7]
	v_cndmask_b32_e64 v18, v20, v38, s[0:1]
	v_cndmask_b32_e32 v13, v17, v42, vcc
	v_cndmask_b32_e64 v14, v16, v43, s[2:3]
	global_store_short v[30:31], v3, off
	global_store_short v[32:33], v14, off
	;; [unrolled: 1-line block ×4, first 2 shown]
	s_andn2_b64 exec, exec, s[28:29]
	s_cbranch_execnz .LBB18_3
; %bb.4:
	s_or_b64 exec, exec, s[28:29]
	v_mad_u64_u32 v[2:3], s[0:1], v1, s8, v[2:3]
	v_cmp_ne_u32_e32 vcc, v0, v1
	s_orn2_b64 s[0:1], vcc, exec
.LBB18_5:
	s_or_b64 exec, exec, s[12:13]
	s_and_b64 exec, exec, s[0:1]
	s_cbranch_execz .LBB18_12
; %bb.6:
	v_ashrrev_i32_e32 v3, 31, v2
	v_not_b32_e32 v1, v3
	v_not_b32_e32 v0, v2
	s_ashr_i32 s9, s8, 31
	v_lshl_add_u64 v[0:1], v[0:1], 0, s[10:11]
	v_lshl_add_u64 v[4:5], v[2:3], 1, s[6:7]
	s_lshl_b64 s[0:1], s[8:9], 1
	s_mov_b64 s[2:3], 0
	v_mov_b32_e32 v6, s9
	s_branch .LBB18_8
.LBB18_7:                               ;   in Loop: Header=BB18_8 Depth=1
	s_or_b64 exec, exec, s[6:7]
	v_subrev_co_u32_e32 v0, vcc, s8, v0
	v_lshl_add_u64 v[2:3], v[2:3], 0, s[8:9]
	s_nop 0
	v_subb_co_u32_e32 v1, vcc, v1, v6, vcc
	v_cmp_le_i32_e32 vcc, s30, v2
	global_store_short v[4:5], v7, off
	s_or_b64 s[2:3], vcc, s[2:3]
	v_lshl_add_u64 v[4:5], v[4:5], 0, s[0:1]
	s_andn2_b64 exec, exec, s[2:3]
	s_cbranch_execz .LBB18_12
.LBB18_8:                               ; =>This Inner Loop Header: Depth=1
	v_cmp_le_i64_e32 vcc, s[4:5], v[2:3]
                                        ; implicit-def: $vgpr7
	s_and_saveexec_b64 s[6:7], vcc
	s_xor_b64 s[6:7], exec, s[6:7]
	s_cbranch_execz .LBB18_10
; %bb.9:                                ;   in Loop: Header=BB18_8 Depth=1
	v_xor_b32_e32 v8, v0, v1
	v_ffbh_i32_e32 v7, v1
	v_ashrrev_i32_e32 v8, 31, v8
	v_add_u32_e32 v7, -1, v7
	v_add_u32_e32 v8, 32, v8
	v_min_u32_e32 v7, v7, v8
	v_lshlrev_b64 v[8:9], v7, v[0:1]
	v_min_u32_e32 v8, 1, v8
	v_or_b32_e32 v8, v9, v8
	v_cvt_f32_i32_e32 v8, v8
	v_sub_u32_e32 v7, 32, v7
	v_ldexp_f32 v7, v8, v7
	v_cvt_f16_f32_e32 v7, v7
	v_mov_b32_e32 v8, s34
	v_fma_f16 v7, -s33, v7, v8
.LBB18_10:                              ;   in Loop: Header=BB18_8 Depth=1
	s_andn2_saveexec_b64 s[6:7], s[6:7]
	s_cbranch_execz .LBB18_7
; %bb.11:                               ;   in Loop: Header=BB18_8 Depth=1
	v_cvt_f32_i32_e32 v7, v2
	v_mov_b32_e32 v8, s31
	v_cvt_f16_f32_e32 v7, v7
	v_fma_f16 v7, s33, v7, v8
	s_branch .LBB18_7
.LBB18_12:
	s_endpgm
	.section	.rodata,"a",@progbits
	.p2align	6, 0x0
	.amdhsa_kernel _ZN12_GLOBAL__N_141elementwise_kernel_with_index_grid_strideIiZZZN2at6native17linspace_cuda_outERKN3c106ScalarES6_lRNS1_6TensorEENKUlvE0_clEvENKUlvE3_clEvEUllE_EEvT_T0_PN15function_traitsISD_E11result_typeE
		.amdhsa_group_segment_fixed_size 0
		.amdhsa_private_segment_fixed_size 0
		.amdhsa_kernarg_size 304
		.amdhsa_user_sgpr_count 2
		.amdhsa_user_sgpr_dispatch_ptr 0
		.amdhsa_user_sgpr_queue_ptr 0
		.amdhsa_user_sgpr_kernarg_segment_ptr 1
		.amdhsa_user_sgpr_dispatch_id 0
		.amdhsa_user_sgpr_kernarg_preload_length 0
		.amdhsa_user_sgpr_kernarg_preload_offset 0
		.amdhsa_user_sgpr_private_segment_size 0
		.amdhsa_uses_dynamic_stack 0
		.amdhsa_enable_private_segment 0
		.amdhsa_system_sgpr_workgroup_id_x 1
		.amdhsa_system_sgpr_workgroup_id_y 0
		.amdhsa_system_sgpr_workgroup_id_z 0
		.amdhsa_system_sgpr_workgroup_info 0
		.amdhsa_system_vgpr_workitem_id 0
		.amdhsa_next_free_vgpr 48
		.amdhsa_next_free_sgpr 41
		.amdhsa_accum_offset 48
		.amdhsa_reserve_vcc 1
		.amdhsa_float_round_mode_32 0
		.amdhsa_float_round_mode_16_64 0
		.amdhsa_float_denorm_mode_32 3
		.amdhsa_float_denorm_mode_16_64 3
		.amdhsa_dx10_clamp 1
		.amdhsa_ieee_mode 1
		.amdhsa_fp16_overflow 0
		.amdhsa_tg_split 0
		.amdhsa_exception_fp_ieee_invalid_op 0
		.amdhsa_exception_fp_denorm_src 0
		.amdhsa_exception_fp_ieee_div_zero 0
		.amdhsa_exception_fp_ieee_overflow 0
		.amdhsa_exception_fp_ieee_underflow 0
		.amdhsa_exception_fp_ieee_inexact 0
		.amdhsa_exception_int_div_zero 0
	.end_amdhsa_kernel
	.section	.text._ZN12_GLOBAL__N_141elementwise_kernel_with_index_grid_strideIiZZZN2at6native17linspace_cuda_outERKN3c106ScalarES6_lRNS1_6TensorEENKUlvE0_clEvENKUlvE3_clEvEUllE_EEvT_T0_PN15function_traitsISD_E11result_typeE,"axG",@progbits,_ZN12_GLOBAL__N_141elementwise_kernel_with_index_grid_strideIiZZZN2at6native17linspace_cuda_outERKN3c106ScalarES6_lRNS1_6TensorEENKUlvE0_clEvENKUlvE3_clEvEUllE_EEvT_T0_PN15function_traitsISD_E11result_typeE,comdat
.Lfunc_end18:
	.size	_ZN12_GLOBAL__N_141elementwise_kernel_with_index_grid_strideIiZZZN2at6native17linspace_cuda_outERKN3c106ScalarES6_lRNS1_6TensorEENKUlvE0_clEvENKUlvE3_clEvEUllE_EEvT_T0_PN15function_traitsISD_E11result_typeE, .Lfunc_end18-_ZN12_GLOBAL__N_141elementwise_kernel_with_index_grid_strideIiZZZN2at6native17linspace_cuda_outERKN3c106ScalarES6_lRNS1_6TensorEENKUlvE0_clEvENKUlvE3_clEvEUllE_EEvT_T0_PN15function_traitsISD_E11result_typeE
                                        ; -- End function
	.set _ZN12_GLOBAL__N_141elementwise_kernel_with_index_grid_strideIiZZZN2at6native17linspace_cuda_outERKN3c106ScalarES6_lRNS1_6TensorEENKUlvE0_clEvENKUlvE3_clEvEUllE_EEvT_T0_PN15function_traitsISD_E11result_typeE.num_vgpr, 48
	.set _ZN12_GLOBAL__N_141elementwise_kernel_with_index_grid_strideIiZZZN2at6native17linspace_cuda_outERKN3c106ScalarES6_lRNS1_6TensorEENKUlvE0_clEvENKUlvE3_clEvEUllE_EEvT_T0_PN15function_traitsISD_E11result_typeE.num_agpr, 0
	.set _ZN12_GLOBAL__N_141elementwise_kernel_with_index_grid_strideIiZZZN2at6native17linspace_cuda_outERKN3c106ScalarES6_lRNS1_6TensorEENKUlvE0_clEvENKUlvE3_clEvEUllE_EEvT_T0_PN15function_traitsISD_E11result_typeE.numbered_sgpr, 41
	.set _ZN12_GLOBAL__N_141elementwise_kernel_with_index_grid_strideIiZZZN2at6native17linspace_cuda_outERKN3c106ScalarES6_lRNS1_6TensorEENKUlvE0_clEvENKUlvE3_clEvEUllE_EEvT_T0_PN15function_traitsISD_E11result_typeE.num_named_barrier, 0
	.set _ZN12_GLOBAL__N_141elementwise_kernel_with_index_grid_strideIiZZZN2at6native17linspace_cuda_outERKN3c106ScalarES6_lRNS1_6TensorEENKUlvE0_clEvENKUlvE3_clEvEUllE_EEvT_T0_PN15function_traitsISD_E11result_typeE.private_seg_size, 0
	.set _ZN12_GLOBAL__N_141elementwise_kernel_with_index_grid_strideIiZZZN2at6native17linspace_cuda_outERKN3c106ScalarES6_lRNS1_6TensorEENKUlvE0_clEvENKUlvE3_clEvEUllE_EEvT_T0_PN15function_traitsISD_E11result_typeE.uses_vcc, 1
	.set _ZN12_GLOBAL__N_141elementwise_kernel_with_index_grid_strideIiZZZN2at6native17linspace_cuda_outERKN3c106ScalarES6_lRNS1_6TensorEENKUlvE0_clEvENKUlvE3_clEvEUllE_EEvT_T0_PN15function_traitsISD_E11result_typeE.uses_flat_scratch, 0
	.set _ZN12_GLOBAL__N_141elementwise_kernel_with_index_grid_strideIiZZZN2at6native17linspace_cuda_outERKN3c106ScalarES6_lRNS1_6TensorEENKUlvE0_clEvENKUlvE3_clEvEUllE_EEvT_T0_PN15function_traitsISD_E11result_typeE.has_dyn_sized_stack, 0
	.set _ZN12_GLOBAL__N_141elementwise_kernel_with_index_grid_strideIiZZZN2at6native17linspace_cuda_outERKN3c106ScalarES6_lRNS1_6TensorEENKUlvE0_clEvENKUlvE3_clEvEUllE_EEvT_T0_PN15function_traitsISD_E11result_typeE.has_recursion, 0
	.set _ZN12_GLOBAL__N_141elementwise_kernel_with_index_grid_strideIiZZZN2at6native17linspace_cuda_outERKN3c106ScalarES6_lRNS1_6TensorEENKUlvE0_clEvENKUlvE3_clEvEUllE_EEvT_T0_PN15function_traitsISD_E11result_typeE.has_indirect_call, 0
	.section	.AMDGPU.csdata,"",@progbits
; Kernel info:
; codeLenInByte = 1264
; TotalNumSgprs: 47
; NumVgprs: 48
; NumAgprs: 0
; TotalNumVgprs: 48
; ScratchSize: 0
; MemoryBound: 0
; FloatMode: 240
; IeeeMode: 1
; LDSByteSize: 0 bytes/workgroup (compile time only)
; SGPRBlocks: 5
; VGPRBlocks: 5
; NumSGPRsForWavesPerEU: 47
; NumVGPRsForWavesPerEU: 48
; AccumOffset: 48
; Occupancy: 8
; WaveLimiterHint : 0
; COMPUTE_PGM_RSRC2:SCRATCH_EN: 0
; COMPUTE_PGM_RSRC2:USER_SGPR: 2
; COMPUTE_PGM_RSRC2:TRAP_HANDLER: 0
; COMPUTE_PGM_RSRC2:TGID_X_EN: 1
; COMPUTE_PGM_RSRC2:TGID_Y_EN: 0
; COMPUTE_PGM_RSRC2:TGID_Z_EN: 0
; COMPUTE_PGM_RSRC2:TIDIG_COMP_CNT: 0
; COMPUTE_PGM_RSRC3_GFX90A:ACCUM_OFFSET: 11
; COMPUTE_PGM_RSRC3_GFX90A:TG_SPLIT: 0
	.section	.text._ZN12_GLOBAL__N_141elementwise_kernel_with_index_grid_strideIlZZZN2at6native17linspace_cuda_outERKN3c106ScalarES6_lRNS1_6TensorEENKUlvE0_clEvENKUlvE3_clEvEUllE_EEvT_T0_PN15function_traitsISD_E11result_typeE,"axG",@progbits,_ZN12_GLOBAL__N_141elementwise_kernel_with_index_grid_strideIlZZZN2at6native17linspace_cuda_outERKN3c106ScalarES6_lRNS1_6TensorEENKUlvE0_clEvENKUlvE3_clEvEUllE_EEvT_T0_PN15function_traitsISD_E11result_typeE,comdat
	.globl	_ZN12_GLOBAL__N_141elementwise_kernel_with_index_grid_strideIlZZZN2at6native17linspace_cuda_outERKN3c106ScalarES6_lRNS1_6TensorEENKUlvE0_clEvENKUlvE3_clEvEUllE_EEvT_T0_PN15function_traitsISD_E11result_typeE ; -- Begin function _ZN12_GLOBAL__N_141elementwise_kernel_with_index_grid_strideIlZZZN2at6native17linspace_cuda_outERKN3c106ScalarES6_lRNS1_6TensorEENKUlvE0_clEvENKUlvE3_clEvEUllE_EEvT_T0_PN15function_traitsISD_E11result_typeE
	.p2align	8
	.type	_ZN12_GLOBAL__N_141elementwise_kernel_with_index_grid_strideIlZZZN2at6native17linspace_cuda_outERKN3c106ScalarES6_lRNS1_6TensorEENKUlvE0_clEvENKUlvE3_clEvEUllE_EEvT_T0_PN15function_traitsISD_E11result_typeE,@function
_ZN12_GLOBAL__N_141elementwise_kernel_with_index_grid_strideIlZZZN2at6native17linspace_cuda_outERKN3c106ScalarES6_lRNS1_6TensorEENKUlvE0_clEvENKUlvE3_clEvEUllE_EEvT_T0_PN15function_traitsISD_E11result_typeE: ; @_ZN12_GLOBAL__N_141elementwise_kernel_with_index_grid_strideIlZZZN2at6native17linspace_cuda_outERKN3c106ScalarES6_lRNS1_6TensorEENKUlvE0_clEvENKUlvE3_clEvEUllE_EEvT_T0_PN15function_traitsISD_E11result_typeE
; %bb.0:
	s_load_dword s3, s[0:1], 0x3c
	s_load_dwordx2 s[6:7], s[0:1], 0x0
	s_add_u32 s4, s0, 48
	s_addc_u32 s5, s1, 0
	v_mov_b32_e32 v1, 0
	s_waitcnt lgkmcnt(0)
	s_and_b32 s3, s3, 0xffff
	v_mov_b32_e32 v2, s2
	v_mad_u64_u32 v[2:3], s[8:9], s3, v2, v[0:1]
	v_cmp_gt_i64_e32 vcc, s[6:7], v[2:3]
	s_and_saveexec_b64 s[8:9], vcc
	s_cbranch_execz .LBB19_18
; %bb.1:
	s_load_dword s4, s[4:5], 0x0
	v_mov_b32_e32 v4, s3
	s_mov_b32 s5, 0
	v_mov_b32_e32 v5, s5
	s_waitcnt lgkmcnt(0)
	s_add_u32 s2, s2, s4
	s_mul_hi_u32 s13, s3, s4
	s_mul_i32 s12, s3, s4
	s_addc_u32 s4, 0, 0
	s_mul_i32 s4, s4, s3
	v_mad_u64_u32 v[6:7], s[2:3], s2, v4, v[0:1]
	v_add_u32_e32 v7, s4, v7
	v_cmp_gt_i64_e32 vcc, s[6:7], v[6:7]
	v_mov_b32_e32 v4, s6
	v_mov_b32_e32 v0, s7
	v_cndmask_b32_e32 v8, v6, v4, vcc
	v_cndmask_b32_e64 v4, 0, 1, vcc
	v_cndmask_b32_e32 v0, v7, v0, vcc
	v_lshl_add_u64 v[6:7], v[6:7], 0, v[4:5]
	v_sub_co_u32_e32 v6, vcc, v8, v6
	v_mov_b32_e32 v8, v1
	s_nop 0
	v_subb_co_u32_e32 v7, vcc, v0, v7, vcc
	v_or_b32_e32 v9, s13, v7
	v_cmp_ne_u64_e32 vcc, 0, v[8:9]
                                        ; implicit-def: $vgpr0_vgpr1
	s_and_saveexec_b64 s[2:3], vcc
	s_xor_b64 s[4:5], exec, s[2:3]
	s_cbranch_execz .LBB19_3
; %bb.2:
	v_cvt_f32_u32_e32 v0, s12
	v_cvt_f32_u32_e32 v1, s13
	s_sub_u32 s8, 0, s12
	s_subb_u32 s9, 0, s13
	v_mov_b32_e32 v9, 0
	v_fmamk_f32 v0, v1, 0x4f800000, v0
	v_rcp_f32_e32 v0, v0
	s_nop 0
	v_mul_f32_e32 v0, 0x5f7ffffc, v0
	v_mul_f32_e32 v1, 0x2f800000, v0
	v_trunc_f32_e32 v1, v1
	v_fmamk_f32 v0, v1, 0xcf800000, v0
	v_cvt_u32_f32_e32 v1, v1
	v_cvt_u32_f32_e32 v0, v0
	v_readfirstlane_b32 s10, v1
	v_readfirstlane_b32 s2, v0
	s_mul_i32 s3, s8, s10
	s_mul_hi_u32 s14, s8, s2
	s_mul_i32 s11, s9, s2
	s_add_i32 s3, s14, s3
	s_mul_i32 s15, s8, s2
	s_add_i32 s3, s3, s11
	s_mul_i32 s14, s2, s3
	s_mul_hi_u32 s16, s2, s15
	s_mul_hi_u32 s11, s2, s3
	s_add_u32 s14, s16, s14
	s_addc_u32 s11, 0, s11
	s_mul_hi_u32 s17, s10, s15
	s_mul_i32 s15, s10, s15
	s_add_u32 s14, s14, s15
	s_mul_hi_u32 s16, s10, s3
	s_addc_u32 s11, s11, s17
	s_addc_u32 s14, s16, 0
	s_mul_i32 s3, s10, s3
	s_add_u32 s3, s11, s3
	s_addc_u32 s11, 0, s14
	s_add_u32 s14, s2, s3
	s_cselect_b64 s[2:3], -1, 0
	s_cmp_lg_u64 s[2:3], 0
	s_addc_u32 s10, s10, s11
	s_mul_i32 s2, s8, s10
	s_mul_hi_u32 s3, s8, s14
	s_add_i32 s2, s3, s2
	s_mul_i32 s9, s9, s14
	s_add_i32 s2, s2, s9
	s_mul_i32 s8, s8, s14
	s_mul_hi_u32 s9, s10, s8
	s_mul_i32 s11, s10, s8
	s_mul_i32 s16, s14, s2
	s_mul_hi_u32 s8, s14, s8
	s_mul_hi_u32 s15, s14, s2
	s_add_u32 s8, s8, s16
	s_addc_u32 s15, 0, s15
	s_add_u32 s8, s8, s11
	s_mul_hi_u32 s3, s10, s2
	s_addc_u32 s8, s15, s9
	s_addc_u32 s3, s3, 0
	s_mul_i32 s2, s10, s2
	s_add_u32 s2, s8, s2
	s_addc_u32 s8, 0, s3
	s_add_u32 s9, s14, s2
	s_cselect_b64 s[2:3], -1, 0
	s_cmp_lg_u64 s[2:3], 0
	s_addc_u32 s8, s10, s8
	v_mad_u64_u32 v[0:1], s[2:3], v6, s8, 0
	v_mul_hi_u32 v8, v6, s9
	v_lshl_add_u64 v[0:1], v[8:9], 0, v[0:1]
	v_mad_u64_u32 v[12:13], s[2:3], v7, s9, 0
	v_add_co_u32_e32 v0, vcc, v0, v12
	v_mad_u64_u32 v[10:11], s[2:3], v7, s8, 0
	s_nop 0
	v_addc_co_u32_e32 v8, vcc, v1, v13, vcc
	s_nop 1
	v_addc_co_u32_e32 v11, vcc, 0, v11, vcc
	v_lshl_add_u64 v[0:1], v[8:9], 0, v[10:11]
	v_mul_lo_u32 v10, s13, v0
	v_mul_lo_u32 v11, s12, v1
	v_mad_u64_u32 v[8:9], s[2:3], s12, v0, 0
	v_add3_u32 v12, v9, v11, v10
	v_sub_u32_e32 v9, v7, v12
	v_mov_b32_e32 v10, s13
	v_sub_co_u32_e32 v6, vcc, v6, v8
	s_nop 1
	v_subb_co_u32_e64 v8, s[2:3], v9, v10, vcc
	v_subrev_co_u32_e64 v9, s[2:3], s12, v6
	v_subb_co_u32_e32 v7, vcc, v7, v12, vcc
	s_nop 0
	v_subbrev_co_u32_e64 v8, s[2:3], 0, v8, s[2:3]
	v_cmp_le_u32_e64 s[2:3], s13, v8
	v_cmp_le_u32_e32 vcc, s13, v7
	s_nop 0
	v_cndmask_b32_e64 v10, 0, -1, s[2:3]
	v_cmp_le_u32_e64 s[2:3], s12, v9
	s_nop 1
	v_cndmask_b32_e64 v9, 0, -1, s[2:3]
	v_cmp_eq_u32_e64 s[2:3], s13, v8
	s_nop 1
	v_cndmask_b32_e64 v13, v10, v9, s[2:3]
	v_lshl_add_u64 v[8:9], v[0:1], 0, 2
	v_lshl_add_u64 v[10:11], v[0:1], 0, 1
	v_cmp_ne_u32_e64 s[2:3], 0, v13
	s_nop 1
	v_cndmask_b32_e64 v9, v11, v9, s[2:3]
	v_cndmask_b32_e64 v11, 0, -1, vcc
	v_cmp_le_u32_e32 vcc, s12, v6
	s_nop 1
	v_cndmask_b32_e64 v6, 0, -1, vcc
	v_cmp_eq_u32_e32 vcc, s13, v7
	s_nop 1
	v_cndmask_b32_e32 v6, v11, v6, vcc
	v_cmp_ne_u32_e32 vcc, 0, v6
	v_cndmask_b32_e64 v6, v10, v8, s[2:3]
	s_nop 0
	v_cndmask_b32_e32 v1, v1, v9, vcc
	v_cndmask_b32_e32 v0, v0, v6, vcc
                                        ; implicit-def: $vgpr6
.LBB19_3:
	s_or_saveexec_b64 s[2:3], s[4:5]
	s_load_dword s33, s[0:1], 0x8
	s_load_dwordx4 s[8:11], s[0:1], 0x20
	s_xor_b64 exec, exec, s[2:3]
	s_cbranch_execz .LBB19_5
; %bb.4:
	v_cvt_f32_u32_e32 v0, s12
	s_sub_i32 s4, 0, s12
	v_rcp_iflag_f32_e32 v0, v0
	s_nop 0
	v_mul_f32_e32 v0, 0x4f7ffffe, v0
	v_cvt_u32_f32_e32 v0, v0
	v_mul_lo_u32 v1, s4, v0
	v_mul_hi_u32 v1, v0, v1
	v_add_u32_e32 v0, v0, v1
	v_mul_hi_u32 v0, v6, v0
	v_mul_lo_u32 v1, v0, s12
	v_sub_u32_e32 v1, v6, v1
	v_add_u32_e32 v7, 1, v0
	v_subrev_u32_e32 v6, s12, v1
	v_cmp_le_u32_e32 vcc, s12, v1
	s_nop 1
	v_cndmask_b32_e32 v1, v1, v6, vcc
	v_cndmask_b32_e32 v0, v0, v7, vcc
	v_add_u32_e32 v6, 1, v0
	v_cmp_le_u32_e32 vcc, s12, v1
	v_mov_b32_e32 v1, 0
	s_nop 0
	v_cndmask_b32_e32 v0, v0, v6, vcc
.LBB19_5:
	s_or_b64 exec, exec, s[2:3]
	s_load_dwordx2 s[14:15], s[0:1], 0x10
	s_load_dword s50, s[0:1], 0x18
	v_lshl_add_u64 v[0:1], v[0:1], 0, v[4:5]
	v_lshl_add_u64 v[0:1], v[0:1], 0, 1
	s_waitcnt lgkmcnt(0)
	s_lshr_b32 s51, s33, 16
	v_cmp_lt_u64_e32 vcc, 3, v[0:1]
	s_mov_b64 s[0:1], 0
                                        ; implicit-def: $vgpr4_vgpr5
	s_and_saveexec_b64 s[2:3], vcc
	s_xor_b64 s[16:17], exec, s[2:3]
	s_cbranch_execnz .LBB19_8
; %bb.6:
	s_andn2_saveexec_b64 s[2:3], s[16:17]
	s_cbranch_execnz .LBB19_11
.LBB19_7:
	s_or_b64 exec, exec, s[2:3]
	s_and_b64 exec, exec, s[0:1]
	s_cbranch_execnz .LBB19_12
	s_branch .LBB19_18
.LBB19_8:
	v_mad_u64_u32 v[8:9], s[0:1], s12, 3, v[2:3]
	v_mov_b32_e32 v10, v9
	v_mad_u64_u32 v[6:7], s[0:1], s12, 2, v[2:3]
	v_mad_u64_u32 v[4:5], s[0:1], s12, 1, v[2:3]
	;; [unrolled: 1-line block ×3, first 2 shown]
	v_lshl_add_u32 v7, s13, 1, v7
	v_add_u32_e32 v5, s13, v5
	v_mov_b32_e32 v9, v10
	v_and_b32_e32 v12, -4, v0
	v_mov_b32_e32 v13, v1
	s_pack_ll_b32_b16 s52, s50, s50
	s_pack_ll_b32_b16 s2, s51, s51
	;; [unrolled: 1-line block ×3, first 2 shown]
	s_lshl_b64 s[36:37], s[12:13], 2
	s_mul_i32 s0, s13, 6
	s_mul_hi_u32 s1, s12, 6
	v_mov_b64_e32 v[10:11], v[8:9]
	s_mov_b32 s18, s8
	s_mov_b32 s19, s9
	s_mov_b32 s20, s8
	s_mov_b32 s21, s9
	s_mov_b32 s22, s8
	s_mov_b32 s23, s9
	s_mov_b32 s24, s8
	s_mov_b32 s25, s9
	s_mov_b32 s26, s14
	s_mov_b32 s27, s15
	s_mov_b32 s28, s14
	s_mov_b32 s29, s15
	s_mov_b32 s30, s14
	s_mov_b32 s31, s15
	s_mov_b32 s53, s52
	s_mov_b32 s38, s36
	s_mov_b32 s39, s37
	s_mov_b32 s40, s36
	s_mov_b32 s41, s37
	s_mov_b32 s42, s36
	s_mov_b32 s43, s37
	s_lshl_b64 s[34:35], s[12:13], 1
	s_add_i32 s45, s1, s0
	s_mul_i32 s44, s12, 6
	v_lshl_add_u64 v[14:15], v[2:3], 1, s[10:11]
	s_lshl_b64 s[48:49], s[12:13], 3
	s_mov_b64 s[46:47], 0
	v_mov_b32_e32 v18, s2
	v_mov_b32_e32 v19, s2
	;; [unrolled: 1-line block ×4, first 2 shown]
	v_mov_b64_e32 v[16:17], v[12:13]
	v_mov_b64_e32 v[8:9], v[6:7]
	;; [unrolled: 1-line block ×4, first 2 shown]
.LBB19_9:                               ; =>This Inner Loop Header: Depth=1
	v_not_b32_e32 v23, v7
	v_not_b32_e32 v22, v6
	;; [unrolled: 1-line block ×8, first 2 shown]
	v_ffbh_u32_e32 v36, v7
	v_ffbh_u32_e32 v37, v5
	;; [unrolled: 1-line block ×3, first 2 shown]
	v_lshl_add_u64 v[24:25], s[14:15], 0, v[24:25]
	v_lshl_add_u64 v[22:23], s[26:27], 0, v[22:23]
	v_ffbh_u32_e32 v39, v9
	v_lshl_add_u64 v[28:29], s[28:29], 0, v[28:29]
	v_lshl_add_u64 v[26:27], s[30:31], 0, v[26:27]
	v_min_u32_e32 v40, 32, v36
	v_min_u32_e32 v41, 32, v37
	;; [unrolled: 1-line block ×3, first 2 shown]
	v_xor_b32_e32 v45, v22, v23
	v_xor_b32_e32 v47, v24, v25
	v_min_u32_e32 v44, 32, v39
	v_ffbh_i32_e32 v46, v23
	v_ffbh_i32_e32 v48, v25
	v_xor_b32_e32 v49, v26, v27
	v_xor_b32_e32 v51, v28, v29
	v_lshlrev_b64 v[36:37], v40, v[6:7]
	v_sub_u32_e32 v53, 32, v40
	v_lshlrev_b64 v[38:39], v41, v[4:5]
	v_sub_u32_e32 v54, 32, v41
	v_lshlrev_b64 v[40:41], v42, v[10:11]
	v_ashrrev_i32_e32 v45, 31, v45
	v_ashrrev_i32_e32 v47, 31, v47
	v_ffbh_i32_e32 v50, v27
	v_ffbh_i32_e32 v52, v29
	v_sub_u32_e32 v55, 32, v42
	v_lshlrev_b64 v[42:43], v44, v[8:9]
	v_add_u32_e32 v46, -1, v46
	v_add_u32_e32 v48, -1, v48
	v_ashrrev_i32_e32 v49, 31, v49
	v_ashrrev_i32_e32 v51, 31, v51
	v_min_u32_e32 v36, 1, v36
	v_min_u32_e32 v38, 1, v38
	;; [unrolled: 1-line block ×3, first 2 shown]
	v_add_u32_e32 v45, 32, v45
	v_add_u32_e32 v47, 32, v47
	v_add_u32_e32 v50, -1, v50
	v_add_u32_e32 v52, -1, v52
	v_min_u32_e32 v42, 1, v42
	v_add_u32_e32 v49, 32, v49
	v_add_u32_e32 v51, 32, v51
	v_or_b32_e32 v36, v37, v36
	v_or_b32_e32 v37, v39, v38
	v_or_b32_e32 v38, v41, v40
	v_min_u32_e32 v40, v46, v45
	v_min_u32_e32 v41, v48, v47
	v_or_b32_e32 v39, v43, v42
	v_min_u32_e32 v42, v50, v49
	v_min_u32_e32 v43, v52, v51
	v_lshlrev_b64 v[22:23], v40, v[22:23]
	v_lshlrev_b64 v[24:25], v41, v[24:25]
	;; [unrolled: 1-line block ×4, first 2 shown]
	v_min_u32_e32 v22, 1, v22
	v_min_u32_e32 v24, 1, v24
	;; [unrolled: 1-line block ×4, first 2 shown]
	v_or_b32_e32 v22, v23, v22
	v_or_b32_e32 v23, v25, v24
	v_cvt_f32_u32_e32 v36, v36
	v_cvt_f32_u32_e32 v37, v37
	v_or_b32_e32 v24, v27, v26
	v_or_b32_e32 v25, v29, v28
	v_cvt_f32_i32_e32 v22, v22
	v_cvt_f32_i32_e32 v23, v23
	v_cvt_f32_u32_e32 v38, v38
	v_cvt_f32_u32_e32 v39, v39
	v_cvt_f32_i32_e32 v24, v24
	v_cvt_f32_i32_e32 v25, v25
	v_sub_u32_e32 v40, 32, v40
	v_sub_u32_e32 v41, 32, v41
	v_lshl_add_u64 v[16:17], v[16:17], 0, -4
	v_sub_u32_e32 v44, 32, v44
	v_sub_u32_e32 v42, 32, v42
	;; [unrolled: 1-line block ×3, first 2 shown]
	v_ldexp_f32 v26, v36, v53
	v_ldexp_f32 v27, v37, v54
	v_ldexp_f32 v22, v22, v40
	v_ldexp_f32 v23, v23, v41
	v_cmp_eq_u64_e32 vcc, 0, v[16:17]
	v_ldexp_f32 v28, v38, v55
	v_ldexp_f32 v29, v39, v44
	v_cvt_pk_f16_f32 v26, v27, v26
	v_ldexp_f32 v24, v24, v42
	v_ldexp_f32 v25, v25, v43
	v_cvt_pk_f16_f32 v22, v23, v22
	s_or_b64 s[46:47], vcc, s[46:47]
	v_cvt_pk_f16_f32 v28, v29, v28
	v_pk_fma_f16 v26, s52, v26, v20
	v_cvt_pk_f16_f32 v24, v25, v24
	v_pk_fma_f16 v22, s52, v22, v18 neg_lo:[1,0,0] neg_hi:[1,0,0]
	v_cmp_gt_i64_e32 vcc, s[18:19], v[4:5]
	v_pk_fma_f16 v27, s53, v28, v21
	v_lshrrev_b32_e32 v29, 16, v26
	v_pk_fma_f16 v23, s53, v24, v19 neg_lo:[1,0,0] neg_hi:[1,0,0]
	v_lshrrev_b32_e32 v24, 16, v22
	v_cmp_gt_i64_e64 s[2:3], s[20:21], v[6:7]
	v_cndmask_b32_e32 v22, v22, v26, vcc
	v_lshl_add_u64 v[30:31], v[14:15], 0, s[34:35]
	v_lshl_add_u64 v[32:33], v[14:15], 0, s[36:37]
	;; [unrolled: 1-line block ×3, first 2 shown]
	v_lshrrev_b32_e32 v28, 16, v27
	v_cmp_gt_i64_e64 s[0:1], s[22:23], v[8:9]
	v_lshl_add_u64 v[8:9], v[8:9], 0, s[40:41]
	v_lshl_add_u64 v[4:5], v[4:5], 0, s[36:37]
	v_lshrrev_b32_e32 v25, 16, v23
	v_cmp_gt_i64_e64 s[4:5], s[24:25], v[10:11]
	v_lshl_add_u64 v[10:11], v[10:11], 0, s[42:43]
	v_lshl_add_u64 v[6:7], v[6:7], 0, s[38:39]
	v_cndmask_b32_e64 v24, v24, v29, s[2:3]
	global_store_short v[14:15], v22, off
	v_lshl_add_u64 v[14:15], v[14:15], 0, s[48:49]
	v_cndmask_b32_e64 v23, v23, v27, s[0:1]
	v_cndmask_b32_e64 v25, v25, v28, s[4:5]
	global_store_short v[30:31], v24, off
	global_store_short v[32:33], v23, off
	;; [unrolled: 1-line block ×3, first 2 shown]
	s_andn2_b64 exec, exec, s[46:47]
	s_cbranch_execnz .LBB19_9
; %bb.10:
	s_or_b64 exec, exec, s[46:47]
	v_mad_u64_u32 v[2:3], s[0:1], v12, s12, v[2:3]
	v_mul_lo_u32 v4, v12, s13
	v_mul_lo_u32 v5, v13, s12
	v_cmp_ne_u64_e32 vcc, v[0:1], v[12:13]
	v_add3_u32 v3, v5, v3, v4
	v_mov_b64_e32 v[4:5], s[34:35]
	s_and_b64 s[0:1], vcc, exec
	s_andn2_saveexec_b64 s[2:3], s[16:17]
	s_cbranch_execz .LBB19_7
.LBB19_11:
	s_lshl_b64 s[4:5], s[12:13], 1
	v_mov_b64_e32 v[4:5], s[4:5]
	s_or_b64 s[0:1], s[0:1], exec
	s_or_b64 exec, exec, s[2:3]
	s_and_b64 exec, exec, s[0:1]
	s_cbranch_execz .LBB19_18
.LBB19_12:
	v_not_b32_e32 v1, v3
	v_not_b32_e32 v0, v2
	v_lshl_add_u64 v[0:1], v[0:1], 0, s[14:15]
	v_lshl_add_u64 v[6:7], v[2:3], 1, s[10:11]
	s_mov_b64 s[0:1], 0
	v_mov_b32_e32 v8, s13
	s_branch .LBB19_14
.LBB19_13:                              ;   in Loop: Header=BB19_14 Depth=1
	s_or_b64 exec, exec, s[2:3]
	v_subrev_co_u32_e32 v0, vcc, s12, v0
	v_lshl_add_u64 v[2:3], v[2:3], 0, s[12:13]
	s_nop 0
	v_subb_co_u32_e32 v1, vcc, v1, v8, vcc
	v_cmp_le_i64_e32 vcc, s[6:7], v[2:3]
	global_store_short v[6:7], v9, off
	s_or_b64 s[0:1], vcc, s[0:1]
	v_lshl_add_u64 v[6:7], v[6:7], 0, v[4:5]
	s_andn2_b64 exec, exec, s[0:1]
	s_cbranch_execz .LBB19_18
.LBB19_14:                              ; =>This Inner Loop Header: Depth=1
	v_cmp_le_i64_e32 vcc, s[8:9], v[2:3]
                                        ; implicit-def: $vgpr9
	s_and_saveexec_b64 s[2:3], vcc
	s_xor_b64 s[2:3], exec, s[2:3]
	s_cbranch_execz .LBB19_16
; %bb.15:                               ;   in Loop: Header=BB19_14 Depth=1
	v_xor_b32_e32 v10, v0, v1
	v_ffbh_i32_e32 v9, v1
	v_ashrrev_i32_e32 v10, 31, v10
	v_add_u32_e32 v9, -1, v9
	v_add_u32_e32 v10, 32, v10
	v_min_u32_e32 v9, v9, v10
	v_lshlrev_b64 v[10:11], v9, v[0:1]
	v_min_u32_e32 v10, 1, v10
	v_or_b32_e32 v10, v11, v10
	v_cvt_f32_i32_e32 v10, v10
	v_sub_u32_e32 v9, 32, v9
	v_ldexp_f32 v9, v10, v9
	v_cvt_f16_f32_e32 v9, v9
	v_mov_b32_e32 v10, s51
	v_fma_f16 v9, -s50, v9, v10
.LBB19_16:                              ;   in Loop: Header=BB19_14 Depth=1
	s_andn2_saveexec_b64 s[2:3], s[2:3]
	s_cbranch_execz .LBB19_13
; %bb.17:                               ;   in Loop: Header=BB19_14 Depth=1
	v_ffbh_u32_e32 v9, v3
	v_min_u32_e32 v9, 32, v9
	v_lshlrev_b64 v[10:11], v9, v[2:3]
	v_min_u32_e32 v10, 1, v10
	v_or_b32_e32 v10, v11, v10
	v_cvt_f32_u32_e32 v10, v10
	v_sub_u32_e32 v9, 32, v9
	v_ldexp_f32 v9, v10, v9
	v_cvt_f16_f32_e32 v9, v9
	v_mov_b32_e32 v10, s33
	v_fma_f16 v9, s50, v9, v10
	s_branch .LBB19_13
.LBB19_18:
	s_endpgm
	.section	.rodata,"a",@progbits
	.p2align	6, 0x0
	.amdhsa_kernel _ZN12_GLOBAL__N_141elementwise_kernel_with_index_grid_strideIlZZZN2at6native17linspace_cuda_outERKN3c106ScalarES6_lRNS1_6TensorEENKUlvE0_clEvENKUlvE3_clEvEUllE_EEvT_T0_PN15function_traitsISD_E11result_typeE
		.amdhsa_group_segment_fixed_size 0
		.amdhsa_private_segment_fixed_size 0
		.amdhsa_kernarg_size 304
		.amdhsa_user_sgpr_count 2
		.amdhsa_user_sgpr_dispatch_ptr 0
		.amdhsa_user_sgpr_queue_ptr 0
		.amdhsa_user_sgpr_kernarg_segment_ptr 1
		.amdhsa_user_sgpr_dispatch_id 0
		.amdhsa_user_sgpr_kernarg_preload_length 0
		.amdhsa_user_sgpr_kernarg_preload_offset 0
		.amdhsa_user_sgpr_private_segment_size 0
		.amdhsa_uses_dynamic_stack 0
		.amdhsa_enable_private_segment 0
		.amdhsa_system_sgpr_workgroup_id_x 1
		.amdhsa_system_sgpr_workgroup_id_y 0
		.amdhsa_system_sgpr_workgroup_id_z 0
		.amdhsa_system_sgpr_workgroup_info 0
		.amdhsa_system_vgpr_workitem_id 0
		.amdhsa_next_free_vgpr 56
		.amdhsa_next_free_sgpr 54
		.amdhsa_accum_offset 56
		.amdhsa_reserve_vcc 1
		.amdhsa_float_round_mode_32 0
		.amdhsa_float_round_mode_16_64 0
		.amdhsa_float_denorm_mode_32 3
		.amdhsa_float_denorm_mode_16_64 3
		.amdhsa_dx10_clamp 1
		.amdhsa_ieee_mode 1
		.amdhsa_fp16_overflow 0
		.amdhsa_tg_split 0
		.amdhsa_exception_fp_ieee_invalid_op 0
		.amdhsa_exception_fp_denorm_src 0
		.amdhsa_exception_fp_ieee_div_zero 0
		.amdhsa_exception_fp_ieee_overflow 0
		.amdhsa_exception_fp_ieee_underflow 0
		.amdhsa_exception_fp_ieee_inexact 0
		.amdhsa_exception_int_div_zero 0
	.end_amdhsa_kernel
	.section	.text._ZN12_GLOBAL__N_141elementwise_kernel_with_index_grid_strideIlZZZN2at6native17linspace_cuda_outERKN3c106ScalarES6_lRNS1_6TensorEENKUlvE0_clEvENKUlvE3_clEvEUllE_EEvT_T0_PN15function_traitsISD_E11result_typeE,"axG",@progbits,_ZN12_GLOBAL__N_141elementwise_kernel_with_index_grid_strideIlZZZN2at6native17linspace_cuda_outERKN3c106ScalarES6_lRNS1_6TensorEENKUlvE0_clEvENKUlvE3_clEvEUllE_EEvT_T0_PN15function_traitsISD_E11result_typeE,comdat
.Lfunc_end19:
	.size	_ZN12_GLOBAL__N_141elementwise_kernel_with_index_grid_strideIlZZZN2at6native17linspace_cuda_outERKN3c106ScalarES6_lRNS1_6TensorEENKUlvE0_clEvENKUlvE3_clEvEUllE_EEvT_T0_PN15function_traitsISD_E11result_typeE, .Lfunc_end19-_ZN12_GLOBAL__N_141elementwise_kernel_with_index_grid_strideIlZZZN2at6native17linspace_cuda_outERKN3c106ScalarES6_lRNS1_6TensorEENKUlvE0_clEvENKUlvE3_clEvEUllE_EEvT_T0_PN15function_traitsISD_E11result_typeE
                                        ; -- End function
	.set _ZN12_GLOBAL__N_141elementwise_kernel_with_index_grid_strideIlZZZN2at6native17linspace_cuda_outERKN3c106ScalarES6_lRNS1_6TensorEENKUlvE0_clEvENKUlvE3_clEvEUllE_EEvT_T0_PN15function_traitsISD_E11result_typeE.num_vgpr, 56
	.set _ZN12_GLOBAL__N_141elementwise_kernel_with_index_grid_strideIlZZZN2at6native17linspace_cuda_outERKN3c106ScalarES6_lRNS1_6TensorEENKUlvE0_clEvENKUlvE3_clEvEUllE_EEvT_T0_PN15function_traitsISD_E11result_typeE.num_agpr, 0
	.set _ZN12_GLOBAL__N_141elementwise_kernel_with_index_grid_strideIlZZZN2at6native17linspace_cuda_outERKN3c106ScalarES6_lRNS1_6TensorEENKUlvE0_clEvENKUlvE3_clEvEUllE_EEvT_T0_PN15function_traitsISD_E11result_typeE.numbered_sgpr, 54
	.set _ZN12_GLOBAL__N_141elementwise_kernel_with_index_grid_strideIlZZZN2at6native17linspace_cuda_outERKN3c106ScalarES6_lRNS1_6TensorEENKUlvE0_clEvENKUlvE3_clEvEUllE_EEvT_T0_PN15function_traitsISD_E11result_typeE.num_named_barrier, 0
	.set _ZN12_GLOBAL__N_141elementwise_kernel_with_index_grid_strideIlZZZN2at6native17linspace_cuda_outERKN3c106ScalarES6_lRNS1_6TensorEENKUlvE0_clEvENKUlvE3_clEvEUllE_EEvT_T0_PN15function_traitsISD_E11result_typeE.private_seg_size, 0
	.set _ZN12_GLOBAL__N_141elementwise_kernel_with_index_grid_strideIlZZZN2at6native17linspace_cuda_outERKN3c106ScalarES6_lRNS1_6TensorEENKUlvE0_clEvENKUlvE3_clEvEUllE_EEvT_T0_PN15function_traitsISD_E11result_typeE.uses_vcc, 1
	.set _ZN12_GLOBAL__N_141elementwise_kernel_with_index_grid_strideIlZZZN2at6native17linspace_cuda_outERKN3c106ScalarES6_lRNS1_6TensorEENKUlvE0_clEvENKUlvE3_clEvEUllE_EEvT_T0_PN15function_traitsISD_E11result_typeE.uses_flat_scratch, 0
	.set _ZN12_GLOBAL__N_141elementwise_kernel_with_index_grid_strideIlZZZN2at6native17linspace_cuda_outERKN3c106ScalarES6_lRNS1_6TensorEENKUlvE0_clEvENKUlvE3_clEvEUllE_EEvT_T0_PN15function_traitsISD_E11result_typeE.has_dyn_sized_stack, 0
	.set _ZN12_GLOBAL__N_141elementwise_kernel_with_index_grid_strideIlZZZN2at6native17linspace_cuda_outERKN3c106ScalarES6_lRNS1_6TensorEENKUlvE0_clEvENKUlvE3_clEvEUllE_EEvT_T0_PN15function_traitsISD_E11result_typeE.has_recursion, 0
	.set _ZN12_GLOBAL__N_141elementwise_kernel_with_index_grid_strideIlZZZN2at6native17linspace_cuda_outERKN3c106ScalarES6_lRNS1_6TensorEENKUlvE0_clEvENKUlvE3_clEvEUllE_EEvT_T0_PN15function_traitsISD_E11result_typeE.has_indirect_call, 0
	.section	.AMDGPU.csdata,"",@progbits
; Kernel info:
; codeLenInByte = 2268
; TotalNumSgprs: 60
; NumVgprs: 56
; NumAgprs: 0
; TotalNumVgprs: 56
; ScratchSize: 0
; MemoryBound: 0
; FloatMode: 240
; IeeeMode: 1
; LDSByteSize: 0 bytes/workgroup (compile time only)
; SGPRBlocks: 7
; VGPRBlocks: 6
; NumSGPRsForWavesPerEU: 60
; NumVGPRsForWavesPerEU: 56
; AccumOffset: 56
; Occupancy: 8
; WaveLimiterHint : 0
; COMPUTE_PGM_RSRC2:SCRATCH_EN: 0
; COMPUTE_PGM_RSRC2:USER_SGPR: 2
; COMPUTE_PGM_RSRC2:TRAP_HANDLER: 0
; COMPUTE_PGM_RSRC2:TGID_X_EN: 1
; COMPUTE_PGM_RSRC2:TGID_Y_EN: 0
; COMPUTE_PGM_RSRC2:TGID_Z_EN: 0
; COMPUTE_PGM_RSRC2:TIDIG_COMP_CNT: 0
; COMPUTE_PGM_RSRC3_GFX90A:ACCUM_OFFSET: 13
; COMPUTE_PGM_RSRC3_GFX90A:TG_SPLIT: 0
	.section	.text._ZN12_GLOBAL__N_141elementwise_kernel_with_index_grid_strideIiZZZN2at6native17linspace_cuda_outERKN3c106ScalarES6_lRNS1_6TensorEENKUlvE0_clEvENKUlvE4_clEvEUllE_EEvT_T0_PN15function_traitsISD_E11result_typeE,"axG",@progbits,_ZN12_GLOBAL__N_141elementwise_kernel_with_index_grid_strideIiZZZN2at6native17linspace_cuda_outERKN3c106ScalarES6_lRNS1_6TensorEENKUlvE0_clEvENKUlvE4_clEvEUllE_EEvT_T0_PN15function_traitsISD_E11result_typeE,comdat
	.globl	_ZN12_GLOBAL__N_141elementwise_kernel_with_index_grid_strideIiZZZN2at6native17linspace_cuda_outERKN3c106ScalarES6_lRNS1_6TensorEENKUlvE0_clEvENKUlvE4_clEvEUllE_EEvT_T0_PN15function_traitsISD_E11result_typeE ; -- Begin function _ZN12_GLOBAL__N_141elementwise_kernel_with_index_grid_strideIiZZZN2at6native17linspace_cuda_outERKN3c106ScalarES6_lRNS1_6TensorEENKUlvE0_clEvENKUlvE4_clEvEUllE_EEvT_T0_PN15function_traitsISD_E11result_typeE
	.p2align	8
	.type	_ZN12_GLOBAL__N_141elementwise_kernel_with_index_grid_strideIiZZZN2at6native17linspace_cuda_outERKN3c106ScalarES6_lRNS1_6TensorEENKUlvE0_clEvENKUlvE4_clEvEUllE_EEvT_T0_PN15function_traitsISD_E11result_typeE,@function
_ZN12_GLOBAL__N_141elementwise_kernel_with_index_grid_strideIiZZZN2at6native17linspace_cuda_outERKN3c106ScalarES6_lRNS1_6TensorEENKUlvE0_clEvENKUlvE4_clEvEUllE_EEvT_T0_PN15function_traitsISD_E11result_typeE: ; @_ZN12_GLOBAL__N_141elementwise_kernel_with_index_grid_strideIiZZZN2at6native17linspace_cuda_outERKN3c106ScalarES6_lRNS1_6TensorEENKUlvE0_clEvENKUlvE4_clEvEUllE_EEvT_T0_PN15function_traitsISD_E11result_typeE
; %bb.0:
	s_load_dword s3, s[0:1], 0x3c
	s_load_dword s33, s[0:1], 0x0
	s_add_u32 s4, s0, 48
	s_addc_u32 s5, s1, 0
	s_waitcnt lgkmcnt(0)
	s_and_b32 s3, s3, 0xffff
	s_mul_i32 s6, s2, s3
	v_add_u32_e32 v2, s6, v0
	v_cmp_gt_i32_e32 vcc, s33, v2
	s_and_saveexec_b64 s[6:7], vcc
	s_cbranch_execz .LBB20_12
; %bb.1:
	s_load_dwordx4 s[8:11], s[0:1], 0x20
	s_load_dword s7, s[4:5], 0x0
	s_load_dword s12, s[0:1], 0x18
	;; [unrolled: 1-line block ×3, first 2 shown]
	s_load_dwordx2 s[16:17], s[0:1], 0x10
	s_waitcnt lgkmcnt(0)
	s_mov_b32 s14, s10
	s_mul_i32 s6, s7, s3
	v_cvt_f32_u32_e32 v1, s6
	s_add_i32 s0, s2, s7
	s_mul_i32 s0, s0, s3
	v_add_u32_e32 v3, s0, v0
	v_rcp_iflag_f32_e32 v1, v1
	v_mov_b32_e32 v5, s0
	v_cmp_gt_i32_e32 vcc, s33, v3
	v_max_i32_e32 v4, s33, v3
	v_mul_f32_e32 v1, 0x4f7ffffe, v1
	v_cvt_u32_f32_e32 v1, v1
	v_addc_co_u32_e64 v0, s[0:1], v0, v5, vcc
	s_sub_i32 s0, 0, s6
	s_nop 0
	v_mul_lo_u32 v3, s0, v1
	v_mul_hi_u32 v3, v1, v3
	v_sub_u32_e32 v0, v4, v0
	v_add_u32_e32 v1, v1, v3
	v_mul_hi_u32 v1, v0, v1
	v_mul_lo_u32 v3, v1, s6
	v_sub_u32_e32 v0, v0, v3
	v_add_u32_e32 v3, 1, v1
	v_cmp_le_u32_e64 s[0:1], s6, v0
	s_mov_b32 s15, s11
	s_lshl_b32 s10, s12, 16
	v_cndmask_b32_e64 v1, v1, v3, s[0:1]
	v_subrev_u32_e32 v3, s6, v0
	v_cndmask_b32_e64 v0, v0, v3, s[0:1]
	v_add_u32_e32 v3, 1, v1
	v_cmp_le_u32_e64 s[0:1], s6, v0
	s_pack_lh_b32_b16 s40, 0, s13
	s_lshl_b32 s12, s13, 16
	v_cndmask_b32_e64 v0, v1, v3, s[0:1]
	v_addc_co_u32_e32 v14, vcc, 1, v0, vcc
	v_cmp_lt_u32_e32 vcc, 3, v14
	s_mov_b64 s[0:1], -1
	s_and_saveexec_b64 s[18:19], vcc
	s_cbranch_execz .LBB20_5
; %bb.2:
	v_add_u32_e32 v3, s6, v2
	v_mad_u64_u32 v[0:1], s[0:1], s6, 3, v[2:3]
	v_lshl_add_u32 v4, s6, 1, v2
	v_mov_b32_e32 v5, v0
	v_and_b32_e32 v15, -4, v14
	s_lshl_b32 s43, s6, 2
	v_mov_b64_e32 v[6:7], v[4:5]
	s_mov_b32 s11, s10
	s_mov_b32 s20, s10
	;; [unrolled: 1-line block ×24, first 2 shown]
	s_mov_b64 s[38:39], 0
	s_movk_i32 s47, 0x7fff
	v_mov_b32_e32 v16, 0x7fc00000
	v_mov_b32_e32 v17, 0x7fc0
	;; [unrolled: 1-line block ×3, first 2 shown]
	v_mov_b64_e32 v[4:5], v[2:3]
.LBB20_3:                               ; =>This Inner Loop Header: Depth=1
	v_not_b32_e32 v20, v5
	v_not_b32_e32 v22, v4
	v_not_b32_e32 v24, v7
	v_not_b32_e32 v26, v6
	v_cvt_f32_i32_e32 v3, v6
	v_cvt_f32_i32_e32 v19, v7
	v_ashrrev_i32_e32 v25, 31, v24
	v_ashrrev_i32_e32 v23, 31, v22
	;; [unrolled: 1-line block ×3, first 2 shown]
	v_cvt_f32_i32_e32 v37, v5
	v_ashrrev_i32_e32 v27, 31, v26
	v_lshl_add_u64 v[20:21], s[30:31], 0, v[20:21]
	v_lshl_add_u64 v[22:23], s[16:17], 0, v[22:23]
	v_lshl_add_u64 v[24:25], s[36:37], 0, v[24:25]
	v_lshl_add_u64 v[26:27], s[34:35], 0, v[26:27]
	v_xor_b32_e32 v40, v24, v25
	v_xor_b32_e32 v42, v22, v23
	;; [unrolled: 1-line block ×3, first 2 shown]
	v_cvt_f32_i32_e32 v36, v4
	v_xor_b32_e32 v38, v26, v27
	v_ffbh_i32_e32 v41, v25
	v_ffbh_i32_e32 v43, v23
	;; [unrolled: 1-line block ×3, first 2 shown]
	v_ashrrev_i32_e32 v40, 31, v40
	v_ashrrev_i32_e32 v42, 31, v42
	;; [unrolled: 1-line block ×3, first 2 shown]
	v_ffbh_i32_e32 v39, v27
	v_ashrrev_i32_e32 v38, 31, v38
	v_add_u32_e32 v41, -1, v41
	v_add_u32_e32 v43, -1, v43
	;; [unrolled: 1-line block ×3, first 2 shown]
	v_bfe_u32 v48, v19, 16, 1
	v_bfe_u32 v49, v3, 16, 1
	v_add_u32_e32 v40, 32, v40
	v_add_u32_e32 v42, 32, v42
	;; [unrolled: 1-line block ×3, first 2 shown]
	v_add_u32_e32 v39, -1, v39
	v_bfe_u32 v46, v37, 16, 1
	v_add_u32_e32 v38, 32, v38
	v_add3_u32 v3, v3, v49, s47
	v_add3_u32 v19, v19, v48, s47
	v_min_u32_e32 v40, v41, v40
	v_min_u32_e32 v41, v43, v42
	;; [unrolled: 1-line block ×3, first 2 shown]
	v_add3_u32 v37, v37, v46, s47
	v_min_u32_e32 v46, v39, v38
	v_and_b32_e32 v39, 0xffff0000, v19
	v_and_b32_e32 v38, 0xffff0000, v3
	v_lshlrev_b64 v[24:25], v40, v[24:25]
	v_lshlrev_b64 v[22:23], v41, v[22:23]
	;; [unrolled: 1-line block ×3, first 2 shown]
	v_bfe_u32 v47, v36, 16, 1
	v_lshlrev_b64 v[26:27], v46, v[26:27]
	v_pk_mul_f32 v[38:39], s[20:21], v[38:39]
	v_min_u32_e32 v24, 1, v24
	v_min_u32_e32 v22, 1, v22
	;; [unrolled: 1-line block ×3, first 2 shown]
	v_add3_u32 v36, v36, v47, s47
	v_sub_u32_e32 v19, 32, v40
	v_sub_u32_e32 v40, 32, v41
	;; [unrolled: 1-line block ×3, first 2 shown]
	v_min_u32_e32 v26, 1, v26
	v_bfe_u32 v42, v38, 16, 1
	v_bfe_u32 v43, v39, 16, 1
	v_or_b32_e32 v24, v25, v24
	v_or_b32_e32 v22, v23, v22
	;; [unrolled: 1-line block ×3, first 2 shown]
	v_and_b32_e32 v37, 0xffff0000, v37
	v_and_b32_e32 v36, 0xffff0000, v36
	v_or_b32_e32 v26, v27, v26
	v_add3_u32 v25, v39, v43, s47
	v_add3_u32 v27, v38, v42, s47
	v_cvt_f32_i32_e32 v24, v24
	v_cvt_f32_i32_e32 v42, v22
	;; [unrolled: 1-line block ×3, first 2 shown]
	v_pk_mul_f32 v[36:37], s[10:11], v[36:37]
	v_cvt_f32_i32_e32 v26, v26
	v_bfe_u32 v44, v36, 16, 1
	v_add3_u32 v23, v36, v44, s47
	v_and_b32_e32 v25, 0xffff0000, v25
	v_cmp_o_f32_e64 s[0:1], v39, v39
	v_add_u32_e32 v18, -4, v18
	v_sub_u32_e32 v3, 32, v46
	v_and_b32_e32 v20, 0xffff0000, v23
	v_cndmask_b32_e64 v23, v16, v25, s[0:1]
	v_ldexp_f32 v19, v24, v19
	v_ldexp_f32 v24, v42, v40
	v_ldexp_f32 v25, v43, v41
	v_cmp_eq_u32_e32 vcc, 0, v18
	v_bfe_u32 v45, v37, 16, 1
	v_and_b32_e32 v22, 0xffff0000, v27
	v_ldexp_f32 v3, v26, v3
	v_bfe_u32 v26, v25, 16, 1
	v_bfe_u32 v27, v24, 16, 1
	s_or_b64 s[38:39], vcc, s[38:39]
	v_add3_u32 v21, v37, v45, s47
	v_cmp_o_f32_e32 vcc, v36, v36
	v_cmp_o_f32_e64 s[4:5], v37, v37
	v_bfe_u32 v36, v19, 16, 1
	v_bfe_u32 v37, v3, 16, 1
	v_add3_u32 v24, v24, v27, s47
	v_add3_u32 v25, v25, v26, s47
	;; [unrolled: 1-line block ×4, first 2 shown]
	v_and_b32_e32 v25, 0xffff0000, v25
	v_and_b32_e32 v24, 0xffff0000, v24
	;; [unrolled: 1-line block ×4, first 2 shown]
	v_pk_mul_f32 v[24:25], s[10:11], v[24:25]
	v_pk_mul_f32 v[26:27], s[20:21], v[26:27]
	v_bfe_u32 v37, v24, 16, 1
	v_and_b32_e32 v21, 0xffff0000, v21
	v_bfe_u32 v3, v27, 16, 1
	v_bfe_u32 v19, v26, 16, 1
	;; [unrolled: 1-line block ×3, first 2 shown]
	v_add3_u32 v37, v24, v37, s47
	v_cmp_o_f32_e64 s[2:3], v38, v38
	v_cndmask_b32_e64 v21, v16, v21, s[4:5]
	v_add3_u32 v36, v25, v36, s47
	v_add3_u32 v19, v26, v19, s47
	;; [unrolled: 1-line block ×3, first 2 shown]
	v_and_b32_e32 v37, 0xffff0000, v37
	v_cmp_o_f32_e64 s[4:5], v24, v24
	v_ashrrev_i32_e32 v1, 31, v4
	v_mov_b32_e32 v0, v4
	v_ashrrev_i32_e32 v9, 31, v5
	v_mov_b32_e32 v8, v5
	v_cndmask_b32_e32 v20, v16, v20, vcc
	v_cndmask_b32_e64 v22, v16, v22, s[2:3]
	v_and_b32_e32 v3, 0xffff0000, v3
	v_and_b32_e32 v19, 0xffff0000, v19
	;; [unrolled: 1-line block ×3, first 2 shown]
	v_cmp_o_f32_e32 vcc, v25, v25
	v_cmp_o_f32_e64 s[0:1], v26, v26
	v_cmp_o_f32_e64 s[2:3], v27, v27
	v_cndmask_b32_e64 v24, v16, v37, s[4:5]
	v_ashrrev_i32_e32 v11, 31, v6
	v_mov_b32_e32 v10, v6
	v_ashrrev_i32_e32 v13, 31, v7
	v_mov_b32_e32 v12, v7
	v_lshl_add_u64 v[30:31], v[8:9], 1, s[14:15]
	v_pk_add_f32 v[20:21], v[20:21], s[12:13]
	v_cndmask_b32_e32 v25, v16, v36, vcc
	v_cndmask_b32_e64 v19, v16, v19, s[0:1]
	v_cndmask_b32_e64 v3, v16, v3, s[2:3]
	v_cmp_gt_i64_e64 s[2:3], s[24:25], v[8:9]
	v_sub_f32_e32 v8, s40, v24
	v_cmp_gt_i64_e64 s[4:5], s[8:9], v[0:1]
	v_lshl_add_u64 v[28:29], v[0:1], 1, s[14:15]
	v_lshl_add_u64 v[32:33], v[10:11], 1, s[14:15]
	;; [unrolled: 1-line block ×3, first 2 shown]
	v_pk_add_f32 v[22:23], v[22:23], s[22:23]
	v_sub_f32_e32 v3, s42, v3
	v_cmp_gt_i64_e32 vcc, s[28:29], v[12:13]
	v_sub_f32_e32 v12, s41, v19
	v_cmp_gt_i64_e64 s[0:1], s[26:27], v[10:11]
	v_sub_f32_e32 v10, s7, v25
	v_cndmask_b32_e64 v0, v8, v20, s[4:5]
	v_cndmask_b32_e64 v1, v10, v21, s[2:3]
	;; [unrolled: 1-line block ×3, first 2 shown]
	v_cndmask_b32_e32 v3, v3, v23, vcc
	v_bfe_u32 v12, v0, 16, 1
	v_bfe_u32 v9, v3, 16, 1
	;; [unrolled: 1-line block ×4, first 2 shown]
	v_add3_u32 v12, v0, v12, s47
	v_add3_u32 v11, v1, v11, s47
	;; [unrolled: 1-line block ×4, first 2 shown]
	v_lshrrev_b32_e32 v12, 16, v12
	v_cmp_o_f32_e64 s[2:3], v0, v0
	v_add_u32_e32 v7, s46, v7
	v_add_u32_e32 v6, s45, v6
	;; [unrolled: 1-line block ×4, first 2 shown]
	v_lshrrev_b32_e32 v9, 16, v9
	v_lshrrev_b32_e32 v10, 16, v10
	;; [unrolled: 1-line block ×3, first 2 shown]
	v_cmp_o_f32_e32 vcc, v8, v8
	v_cmp_o_f32_e64 s[0:1], v1, v1
	v_cmp_o_f32_e64 s[4:5], v3, v3
	v_cndmask_b32_e64 v8, v17, v12, s[2:3]
	v_cndmask_b32_e32 v1, v17, v10, vcc
	v_cndmask_b32_e64 v0, v17, v9, s[4:5]
	v_cndmask_b32_e64 v3, v17, v11, s[0:1]
	global_store_short v[28:29], v8, off
	global_store_short v[30:31], v3, off
	;; [unrolled: 1-line block ×4, first 2 shown]
	s_andn2_b64 exec, exec, s[38:39]
	s_cbranch_execnz .LBB20_3
; %bb.4:
	s_or_b64 exec, exec, s[38:39]
	v_mad_u64_u32 v[2:3], s[0:1], v15, s6, v[2:3]
	v_cmp_ne_u32_e32 vcc, v14, v15
	s_orn2_b64 s[0:1], vcc, exec
.LBB20_5:
	s_or_b64 exec, exec, s[18:19]
	s_and_b64 exec, exec, s[0:1]
	s_cbranch_execz .LBB20_12
; %bb.6:
	v_ashrrev_i32_e32 v3, 31, v2
	v_not_b32_e32 v1, v3
	v_not_b32_e32 v0, v2
	s_ashr_i32 s7, s6, 31
	v_lshl_add_u64 v[0:1], v[0:1], 0, s[16:17]
	v_lshl_add_u64 v[4:5], v[2:3], 1, s[14:15]
	s_lshl_b64 s[0:1], s[6:7], 1
	s_mov_b64 s[2:3], 0
	s_movk_i32 s11, 0x7fff
	v_mov_b32_e32 v6, 0x7fc0
	v_mov_b32_e32 v7, s7
	;; [unrolled: 1-line block ×3, first 2 shown]
	s_branch .LBB20_8
.LBB20_7:                               ;   in Loop: Header=BB20_8 Depth=1
	s_or_b64 exec, exec, s[4:5]
	v_bfe_u32 v10, v9, 16, 1
	v_add3_u32 v10, v9, v10, s11
	v_cmp_o_f32_e32 vcc, v9, v9
	v_lshl_add_u64 v[2:3], v[2:3], 0, s[6:7]
	s_nop 0
	v_cndmask_b32_sdwa v9, v6, v10, vcc dst_sel:DWORD dst_unused:UNUSED_PAD src0_sel:DWORD src1_sel:WORD_1
	v_subrev_co_u32_e32 v0, vcc, s6, v0
	global_store_short v[4:5], v9, off
	s_nop 0
	v_subb_co_u32_e32 v1, vcc, v1, v7, vcc
	v_cmp_le_i32_e32 vcc, s33, v2
	s_or_b64 s[2:3], vcc, s[2:3]
	v_lshl_add_u64 v[4:5], v[4:5], 0, s[0:1]
	s_andn2_b64 exec, exec, s[2:3]
	s_cbranch_execz .LBB20_12
.LBB20_8:                               ; =>This Inner Loop Header: Depth=1
	v_cmp_le_i64_e32 vcc, s[8:9], v[2:3]
                                        ; implicit-def: $vgpr9
	s_and_saveexec_b64 s[4:5], vcc
	s_xor_b64 s[4:5], exec, s[4:5]
	s_cbranch_execz .LBB20_10
; %bb.9:                                ;   in Loop: Header=BB20_8 Depth=1
	v_xor_b32_e32 v10, v0, v1
	v_ffbh_i32_e32 v9, v1
	v_ashrrev_i32_e32 v10, 31, v10
	v_add_u32_e32 v9, -1, v9
	v_add_u32_e32 v10, 32, v10
	v_min_u32_e32 v9, v9, v10
	v_lshlrev_b64 v[10:11], v9, v[0:1]
	v_min_u32_e32 v10, 1, v10
	v_or_b32_e32 v10, v11, v10
	v_cvt_f32_i32_e32 v10, v10
	v_sub_u32_e32 v9, 32, v9
	v_ldexp_f32 v9, v10, v9
	v_bfe_u32 v10, v9, 16, 1
	v_add3_u32 v9, v9, v10, s11
	v_and_b32_e32 v9, 0xffff0000, v9
	v_mul_f32_e32 v9, s10, v9
	v_bfe_u32 v10, v9, 16, 1
	v_add3_u32 v10, v9, v10, s11
	v_and_b32_e32 v10, 0xffff0000, v10
	v_cmp_o_f32_e32 vcc, v9, v9
	s_nop 1
	v_cndmask_b32_e32 v9, v8, v10, vcc
	v_sub_f32_e32 v9, s40, v9
.LBB20_10:                              ;   in Loop: Header=BB20_8 Depth=1
	s_andn2_saveexec_b64 s[4:5], s[4:5]
	s_cbranch_execz .LBB20_7
; %bb.11:                               ;   in Loop: Header=BB20_8 Depth=1
	v_cvt_f32_i32_e32 v9, v2
	v_bfe_u32 v10, v9, 16, 1
	v_add3_u32 v9, v9, v10, s11
	v_and_b32_e32 v9, 0xffff0000, v9
	v_mul_f32_e32 v9, s10, v9
	v_bfe_u32 v10, v9, 16, 1
	v_add3_u32 v10, v9, v10, s11
	v_and_b32_e32 v10, 0xffff0000, v10
	v_cmp_o_f32_e32 vcc, v9, v9
	s_nop 1
	v_cndmask_b32_e32 v9, v8, v10, vcc
	v_add_f32_e32 v9, s12, v9
	s_branch .LBB20_7
.LBB20_12:
	s_endpgm
	.section	.rodata,"a",@progbits
	.p2align	6, 0x0
	.amdhsa_kernel _ZN12_GLOBAL__N_141elementwise_kernel_with_index_grid_strideIiZZZN2at6native17linspace_cuda_outERKN3c106ScalarES6_lRNS1_6TensorEENKUlvE0_clEvENKUlvE4_clEvEUllE_EEvT_T0_PN15function_traitsISD_E11result_typeE
		.amdhsa_group_segment_fixed_size 0
		.amdhsa_private_segment_fixed_size 0
		.amdhsa_kernarg_size 304
		.amdhsa_user_sgpr_count 2
		.amdhsa_user_sgpr_dispatch_ptr 0
		.amdhsa_user_sgpr_queue_ptr 0
		.amdhsa_user_sgpr_kernarg_segment_ptr 1
		.amdhsa_user_sgpr_dispatch_id 0
		.amdhsa_user_sgpr_kernarg_preload_length 0
		.amdhsa_user_sgpr_kernarg_preload_offset 0
		.amdhsa_user_sgpr_private_segment_size 0
		.amdhsa_uses_dynamic_stack 0
		.amdhsa_enable_private_segment 0
		.amdhsa_system_sgpr_workgroup_id_x 1
		.amdhsa_system_sgpr_workgroup_id_y 0
		.amdhsa_system_sgpr_workgroup_id_z 0
		.amdhsa_system_sgpr_workgroup_info 0
		.amdhsa_system_vgpr_workitem_id 0
		.amdhsa_next_free_vgpr 50
		.amdhsa_next_free_sgpr 48
		.amdhsa_accum_offset 52
		.amdhsa_reserve_vcc 1
		.amdhsa_float_round_mode_32 0
		.amdhsa_float_round_mode_16_64 0
		.amdhsa_float_denorm_mode_32 3
		.amdhsa_float_denorm_mode_16_64 3
		.amdhsa_dx10_clamp 1
		.amdhsa_ieee_mode 1
		.amdhsa_fp16_overflow 0
		.amdhsa_tg_split 0
		.amdhsa_exception_fp_ieee_invalid_op 0
		.amdhsa_exception_fp_denorm_src 0
		.amdhsa_exception_fp_ieee_div_zero 0
		.amdhsa_exception_fp_ieee_overflow 0
		.amdhsa_exception_fp_ieee_underflow 0
		.amdhsa_exception_fp_ieee_inexact 0
		.amdhsa_exception_int_div_zero 0
	.end_amdhsa_kernel
	.section	.text._ZN12_GLOBAL__N_141elementwise_kernel_with_index_grid_strideIiZZZN2at6native17linspace_cuda_outERKN3c106ScalarES6_lRNS1_6TensorEENKUlvE0_clEvENKUlvE4_clEvEUllE_EEvT_T0_PN15function_traitsISD_E11result_typeE,"axG",@progbits,_ZN12_GLOBAL__N_141elementwise_kernel_with_index_grid_strideIiZZZN2at6native17linspace_cuda_outERKN3c106ScalarES6_lRNS1_6TensorEENKUlvE0_clEvENKUlvE4_clEvEUllE_EEvT_T0_PN15function_traitsISD_E11result_typeE,comdat
.Lfunc_end20:
	.size	_ZN12_GLOBAL__N_141elementwise_kernel_with_index_grid_strideIiZZZN2at6native17linspace_cuda_outERKN3c106ScalarES6_lRNS1_6TensorEENKUlvE0_clEvENKUlvE4_clEvEUllE_EEvT_T0_PN15function_traitsISD_E11result_typeE, .Lfunc_end20-_ZN12_GLOBAL__N_141elementwise_kernel_with_index_grid_strideIiZZZN2at6native17linspace_cuda_outERKN3c106ScalarES6_lRNS1_6TensorEENKUlvE0_clEvENKUlvE4_clEvEUllE_EEvT_T0_PN15function_traitsISD_E11result_typeE
                                        ; -- End function
	.set _ZN12_GLOBAL__N_141elementwise_kernel_with_index_grid_strideIiZZZN2at6native17linspace_cuda_outERKN3c106ScalarES6_lRNS1_6TensorEENKUlvE0_clEvENKUlvE4_clEvEUllE_EEvT_T0_PN15function_traitsISD_E11result_typeE.num_vgpr, 50
	.set _ZN12_GLOBAL__N_141elementwise_kernel_with_index_grid_strideIiZZZN2at6native17linspace_cuda_outERKN3c106ScalarES6_lRNS1_6TensorEENKUlvE0_clEvENKUlvE4_clEvEUllE_EEvT_T0_PN15function_traitsISD_E11result_typeE.num_agpr, 0
	.set _ZN12_GLOBAL__N_141elementwise_kernel_with_index_grid_strideIiZZZN2at6native17linspace_cuda_outERKN3c106ScalarES6_lRNS1_6TensorEENKUlvE0_clEvENKUlvE4_clEvEUllE_EEvT_T0_PN15function_traitsISD_E11result_typeE.numbered_sgpr, 48
	.set _ZN12_GLOBAL__N_141elementwise_kernel_with_index_grid_strideIiZZZN2at6native17linspace_cuda_outERKN3c106ScalarES6_lRNS1_6TensorEENKUlvE0_clEvENKUlvE4_clEvEUllE_EEvT_T0_PN15function_traitsISD_E11result_typeE.num_named_barrier, 0
	.set _ZN12_GLOBAL__N_141elementwise_kernel_with_index_grid_strideIiZZZN2at6native17linspace_cuda_outERKN3c106ScalarES6_lRNS1_6TensorEENKUlvE0_clEvENKUlvE4_clEvEUllE_EEvT_T0_PN15function_traitsISD_E11result_typeE.private_seg_size, 0
	.set _ZN12_GLOBAL__N_141elementwise_kernel_with_index_grid_strideIiZZZN2at6native17linspace_cuda_outERKN3c106ScalarES6_lRNS1_6TensorEENKUlvE0_clEvENKUlvE4_clEvEUllE_EEvT_T0_PN15function_traitsISD_E11result_typeE.uses_vcc, 1
	.set _ZN12_GLOBAL__N_141elementwise_kernel_with_index_grid_strideIiZZZN2at6native17linspace_cuda_outERKN3c106ScalarES6_lRNS1_6TensorEENKUlvE0_clEvENKUlvE4_clEvEUllE_EEvT_T0_PN15function_traitsISD_E11result_typeE.uses_flat_scratch, 0
	.set _ZN12_GLOBAL__N_141elementwise_kernel_with_index_grid_strideIiZZZN2at6native17linspace_cuda_outERKN3c106ScalarES6_lRNS1_6TensorEENKUlvE0_clEvENKUlvE4_clEvEUllE_EEvT_T0_PN15function_traitsISD_E11result_typeE.has_dyn_sized_stack, 0
	.set _ZN12_GLOBAL__N_141elementwise_kernel_with_index_grid_strideIiZZZN2at6native17linspace_cuda_outERKN3c106ScalarES6_lRNS1_6TensorEENKUlvE0_clEvENKUlvE4_clEvEUllE_EEvT_T0_PN15function_traitsISD_E11result_typeE.has_recursion, 0
	.set _ZN12_GLOBAL__N_141elementwise_kernel_with_index_grid_strideIiZZZN2at6native17linspace_cuda_outERKN3c106ScalarES6_lRNS1_6TensorEENKUlvE0_clEvENKUlvE4_clEvEUllE_EEvT_T0_PN15function_traitsISD_E11result_typeE.has_indirect_call, 0
	.section	.AMDGPU.csdata,"",@progbits
; Kernel info:
; codeLenInByte = 2068
; TotalNumSgprs: 54
; NumVgprs: 50
; NumAgprs: 0
; TotalNumVgprs: 50
; ScratchSize: 0
; MemoryBound: 0
; FloatMode: 240
; IeeeMode: 1
; LDSByteSize: 0 bytes/workgroup (compile time only)
; SGPRBlocks: 6
; VGPRBlocks: 6
; NumSGPRsForWavesPerEU: 54
; NumVGPRsForWavesPerEU: 50
; AccumOffset: 52
; Occupancy: 8
; WaveLimiterHint : 0
; COMPUTE_PGM_RSRC2:SCRATCH_EN: 0
; COMPUTE_PGM_RSRC2:USER_SGPR: 2
; COMPUTE_PGM_RSRC2:TRAP_HANDLER: 0
; COMPUTE_PGM_RSRC2:TGID_X_EN: 1
; COMPUTE_PGM_RSRC2:TGID_Y_EN: 0
; COMPUTE_PGM_RSRC2:TGID_Z_EN: 0
; COMPUTE_PGM_RSRC2:TIDIG_COMP_CNT: 0
; COMPUTE_PGM_RSRC3_GFX90A:ACCUM_OFFSET: 12
; COMPUTE_PGM_RSRC3_GFX90A:TG_SPLIT: 0
	.section	.text._ZN12_GLOBAL__N_141elementwise_kernel_with_index_grid_strideIlZZZN2at6native17linspace_cuda_outERKN3c106ScalarES6_lRNS1_6TensorEENKUlvE0_clEvENKUlvE4_clEvEUllE_EEvT_T0_PN15function_traitsISD_E11result_typeE,"axG",@progbits,_ZN12_GLOBAL__N_141elementwise_kernel_with_index_grid_strideIlZZZN2at6native17linspace_cuda_outERKN3c106ScalarES6_lRNS1_6TensorEENKUlvE0_clEvENKUlvE4_clEvEUllE_EEvT_T0_PN15function_traitsISD_E11result_typeE,comdat
	.globl	_ZN12_GLOBAL__N_141elementwise_kernel_with_index_grid_strideIlZZZN2at6native17linspace_cuda_outERKN3c106ScalarES6_lRNS1_6TensorEENKUlvE0_clEvENKUlvE4_clEvEUllE_EEvT_T0_PN15function_traitsISD_E11result_typeE ; -- Begin function _ZN12_GLOBAL__N_141elementwise_kernel_with_index_grid_strideIlZZZN2at6native17linspace_cuda_outERKN3c106ScalarES6_lRNS1_6TensorEENKUlvE0_clEvENKUlvE4_clEvEUllE_EEvT_T0_PN15function_traitsISD_E11result_typeE
	.p2align	8
	.type	_ZN12_GLOBAL__N_141elementwise_kernel_with_index_grid_strideIlZZZN2at6native17linspace_cuda_outERKN3c106ScalarES6_lRNS1_6TensorEENKUlvE0_clEvENKUlvE4_clEvEUllE_EEvT_T0_PN15function_traitsISD_E11result_typeE,@function
_ZN12_GLOBAL__N_141elementwise_kernel_with_index_grid_strideIlZZZN2at6native17linspace_cuda_outERKN3c106ScalarES6_lRNS1_6TensorEENKUlvE0_clEvENKUlvE4_clEvEUllE_EEvT_T0_PN15function_traitsISD_E11result_typeE: ; @_ZN12_GLOBAL__N_141elementwise_kernel_with_index_grid_strideIlZZZN2at6native17linspace_cuda_outERKN3c106ScalarES6_lRNS1_6TensorEENKUlvE0_clEvENKUlvE4_clEvEUllE_EEvT_T0_PN15function_traitsISD_E11result_typeE
; %bb.0:
	s_load_dword s3, s[0:1], 0x3c
	s_load_dwordx2 s[6:7], s[0:1], 0x0
	s_add_u32 s4, s0, 48
	s_addc_u32 s5, s1, 0
	v_mov_b32_e32 v1, 0
	s_waitcnt lgkmcnt(0)
	s_and_b32 s3, s3, 0xffff
	v_mov_b32_e32 v2, s2
	v_mad_u64_u32 v[2:3], s[8:9], s3, v2, v[0:1]
	v_cmp_gt_i64_e32 vcc, s[6:7], v[2:3]
	s_and_saveexec_b64 s[8:9], vcc
	s_cbranch_execz .LBB21_18
; %bb.1:
	s_load_dword s4, s[4:5], 0x0
	v_mov_b32_e32 v4, s3
	s_mov_b32 s5, 0
	v_mov_b32_e32 v5, s5
	s_load_dword s15, s[0:1], 0x8
	s_waitcnt lgkmcnt(0)
	s_add_u32 s2, s2, s4
	s_mul_hi_u32 s13, s3, s4
	s_mul_i32 s12, s3, s4
	s_addc_u32 s4, 0, 0
	s_mul_i32 s4, s4, s3
	v_mad_u64_u32 v[6:7], s[2:3], s2, v4, v[0:1]
	v_add_u32_e32 v7, s4, v7
	v_cmp_gt_i64_e32 vcc, s[6:7], v[6:7]
	v_mov_b32_e32 v4, s6
	v_mov_b32_e32 v0, s7
	v_cndmask_b32_e32 v8, v6, v4, vcc
	v_cndmask_b32_e64 v4, 0, 1, vcc
	v_cndmask_b32_e32 v0, v7, v0, vcc
	v_lshl_add_u64 v[6:7], v[6:7], 0, v[4:5]
	v_sub_co_u32_e32 v6, vcc, v8, v6
	v_mov_b32_e32 v8, v1
	s_nop 0
	v_subb_co_u32_e32 v7, vcc, v0, v7, vcc
	v_or_b32_e32 v9, s13, v7
	v_cmp_ne_u64_e32 vcc, 0, v[8:9]
                                        ; implicit-def: $vgpr0_vgpr1
	s_and_saveexec_b64 s[2:3], vcc
	s_xor_b64 s[4:5], exec, s[2:3]
	s_cbranch_execz .LBB21_3
; %bb.2:
	v_cvt_f32_u32_e32 v0, s12
	v_cvt_f32_u32_e32 v1, s13
	s_sub_u32 s8, 0, s12
	s_subb_u32 s9, 0, s13
	v_mov_b32_e32 v9, 0
	v_fmamk_f32 v0, v1, 0x4f800000, v0
	v_rcp_f32_e32 v0, v0
	s_nop 0
	v_mul_f32_e32 v0, 0x5f7ffffc, v0
	v_mul_f32_e32 v1, 0x2f800000, v0
	v_trunc_f32_e32 v1, v1
	v_fmamk_f32 v0, v1, 0xcf800000, v0
	v_cvt_u32_f32_e32 v1, v1
	v_cvt_u32_f32_e32 v0, v0
	v_readfirstlane_b32 s10, v1
	v_readfirstlane_b32 s2, v0
	s_mul_i32 s3, s8, s10
	s_mul_hi_u32 s14, s8, s2
	s_mul_i32 s11, s9, s2
	s_add_i32 s3, s14, s3
	s_mul_i32 s16, s8, s2
	s_add_i32 s3, s3, s11
	s_mul_i32 s14, s2, s3
	s_mul_hi_u32 s17, s2, s16
	s_mul_hi_u32 s11, s2, s3
	s_add_u32 s14, s17, s14
	s_addc_u32 s11, 0, s11
	s_mul_hi_u32 s18, s10, s16
	s_mul_i32 s16, s10, s16
	s_add_u32 s14, s14, s16
	s_mul_hi_u32 s17, s10, s3
	s_addc_u32 s11, s11, s18
	s_addc_u32 s14, s17, 0
	s_mul_i32 s3, s10, s3
	s_add_u32 s3, s11, s3
	s_addc_u32 s11, 0, s14
	s_add_u32 s14, s2, s3
	s_cselect_b64 s[2:3], -1, 0
	s_cmp_lg_u64 s[2:3], 0
	s_addc_u32 s10, s10, s11
	s_mul_i32 s2, s8, s10
	s_mul_hi_u32 s3, s8, s14
	s_add_i32 s2, s3, s2
	s_mul_i32 s9, s9, s14
	s_add_i32 s2, s2, s9
	s_mul_i32 s8, s8, s14
	s_mul_hi_u32 s9, s10, s8
	s_mul_i32 s11, s10, s8
	s_mul_i32 s17, s14, s2
	s_mul_hi_u32 s8, s14, s8
	s_mul_hi_u32 s16, s14, s2
	s_add_u32 s8, s8, s17
	s_addc_u32 s16, 0, s16
	s_add_u32 s8, s8, s11
	s_mul_hi_u32 s3, s10, s2
	s_addc_u32 s8, s16, s9
	s_addc_u32 s3, s3, 0
	s_mul_i32 s2, s10, s2
	s_add_u32 s2, s8, s2
	s_addc_u32 s8, 0, s3
	s_add_u32 s9, s14, s2
	s_cselect_b64 s[2:3], -1, 0
	s_cmp_lg_u64 s[2:3], 0
	s_addc_u32 s8, s10, s8
	v_mad_u64_u32 v[0:1], s[2:3], v6, s8, 0
	v_mul_hi_u32 v8, v6, s9
	v_lshl_add_u64 v[0:1], v[8:9], 0, v[0:1]
	v_mad_u64_u32 v[12:13], s[2:3], v7, s9, 0
	v_add_co_u32_e32 v0, vcc, v0, v12
	v_mad_u64_u32 v[10:11], s[2:3], v7, s8, 0
	s_nop 0
	v_addc_co_u32_e32 v8, vcc, v1, v13, vcc
	s_nop 1
	v_addc_co_u32_e32 v11, vcc, 0, v11, vcc
	v_lshl_add_u64 v[0:1], v[8:9], 0, v[10:11]
	v_mul_lo_u32 v10, s13, v0
	v_mul_lo_u32 v11, s12, v1
	v_mad_u64_u32 v[8:9], s[2:3], s12, v0, 0
	v_add3_u32 v12, v9, v11, v10
	v_sub_u32_e32 v9, v7, v12
	v_mov_b32_e32 v10, s13
	v_sub_co_u32_e32 v6, vcc, v6, v8
	s_nop 1
	v_subb_co_u32_e64 v8, s[2:3], v9, v10, vcc
	v_subrev_co_u32_e64 v9, s[2:3], s12, v6
	v_subb_co_u32_e32 v7, vcc, v7, v12, vcc
	s_nop 0
	v_subbrev_co_u32_e64 v8, s[2:3], 0, v8, s[2:3]
	v_cmp_le_u32_e64 s[2:3], s13, v8
	v_cmp_le_u32_e32 vcc, s13, v7
	s_nop 0
	v_cndmask_b32_e64 v10, 0, -1, s[2:3]
	v_cmp_le_u32_e64 s[2:3], s12, v9
	s_nop 1
	v_cndmask_b32_e64 v9, 0, -1, s[2:3]
	v_cmp_eq_u32_e64 s[2:3], s13, v8
	s_nop 1
	v_cndmask_b32_e64 v13, v10, v9, s[2:3]
	v_lshl_add_u64 v[8:9], v[0:1], 0, 2
	v_lshl_add_u64 v[10:11], v[0:1], 0, 1
	v_cmp_ne_u32_e64 s[2:3], 0, v13
	s_nop 1
	v_cndmask_b32_e64 v9, v11, v9, s[2:3]
	v_cndmask_b32_e64 v11, 0, -1, vcc
	v_cmp_le_u32_e32 vcc, s12, v6
	s_nop 1
	v_cndmask_b32_e64 v6, 0, -1, vcc
	v_cmp_eq_u32_e32 vcc, s13, v7
	s_nop 1
	v_cndmask_b32_e32 v6, v11, v6, vcc
	v_cmp_ne_u32_e32 vcc, 0, v6
	v_cndmask_b32_e64 v6, v10, v8, s[2:3]
	s_nop 0
	v_cndmask_b32_e32 v1, v1, v9, vcc
	v_cndmask_b32_e32 v0, v0, v6, vcc
                                        ; implicit-def: $vgpr6
.LBB21_3:
	s_or_saveexec_b64 s[2:3], s[4:5]
	s_load_dword s4, s[0:1], 0x18
	s_load_dwordx4 s[8:11], s[0:1], 0x20
	s_xor_b64 exec, exec, s[2:3]
	s_cbranch_execz .LBB21_5
; %bb.4:
	v_cvt_f32_u32_e32 v0, s12
	s_sub_i32 s5, 0, s12
	v_rcp_iflag_f32_e32 v0, v0
	s_nop 0
	v_mul_f32_e32 v0, 0x4f7ffffe, v0
	v_cvt_u32_f32_e32 v0, v0
	v_mul_lo_u32 v1, s5, v0
	v_mul_hi_u32 v1, v0, v1
	v_add_u32_e32 v0, v0, v1
	v_mul_hi_u32 v0, v6, v0
	v_mul_lo_u32 v1, v0, s12
	v_sub_u32_e32 v1, v6, v1
	v_add_u32_e32 v7, 1, v0
	v_subrev_u32_e32 v6, s12, v1
	v_cmp_le_u32_e32 vcc, s12, v1
	s_nop 1
	v_cndmask_b32_e32 v1, v1, v6, vcc
	v_cndmask_b32_e32 v0, v0, v7, vcc
	v_add_u32_e32 v6, 1, v0
	v_cmp_le_u32_e32 vcc, s12, v1
	v_mov_b32_e32 v1, 0
	s_nop 0
	v_cndmask_b32_e32 v0, v0, v6, vcc
.LBB21_5:
	s_or_b64 exec, exec, s[2:3]
	s_load_dwordx2 s[18:19], s[0:1], 0x10
	v_lshl_add_u64 v[0:1], v[0:1], 0, v[4:5]
	v_lshl_add_u64 v[0:1], v[0:1], 0, 1
	s_waitcnt lgkmcnt(0)
	s_lshl_b32 s14, s4, 16
	s_pack_lh_b32_b16 s33, 0, s15
	s_lshl_b32 s16, s15, 16
	v_cmp_lt_u64_e32 vcc, 3, v[0:1]
	s_mov_b64 s[0:1], 0
                                        ; implicit-def: $vgpr4_vgpr5
	s_and_saveexec_b64 s[2:3], vcc
	s_xor_b64 s[20:21], exec, s[2:3]
	s_cbranch_execnz .LBB21_8
; %bb.6:
	s_andn2_saveexec_b64 s[2:3], s[20:21]
	s_cbranch_execnz .LBB21_11
.LBB21_7:
	s_or_b64 exec, exec, s[2:3]
	s_and_b64 exec, exec, s[0:1]
	s_cbranch_execnz .LBB21_12
	s_branch .LBB21_18
.LBB21_8:
	v_mad_u64_u32 v[8:9], s[0:1], s12, 3, v[2:3]
	v_mov_b32_e32 v10, v9
	v_mad_u64_u32 v[6:7], s[0:1], s12, 2, v[2:3]
	v_mad_u64_u32 v[4:5], s[0:1], s12, 1, v[2:3]
	;; [unrolled: 1-line block ×3, first 2 shown]
	v_lshl_add_u32 v7, s13, 1, v7
	v_add_u32_e32 v5, s13, v5
	v_mov_b32_e32 v9, v10
	v_and_b32_e32 v12, -4, v0
	v_mov_b32_e32 v13, v1
	s_lshl_b64 s[44:45], s[12:13], 2
	s_mul_i32 s0, s13, 6
	s_mul_hi_u32 s1, s12, 6
	v_mov_b64_e32 v[10:11], v[8:9]
	s_mov_b32 s15, s14
	s_mov_b32 s22, s14
	;; [unrolled: 1-line block ×29, first 2 shown]
	s_lshl_b64 s[42:43], s[12:13], 1
	s_add_i32 s53, s1, s0
	s_mul_i32 s52, s12, 6
	v_lshl_add_u64 v[14:15], v[2:3], 1, s[10:11]
	s_lshl_b64 s[56:57], s[12:13], 3
	s_mov_b64 s[54:55], 0
	s_movk_i32 s61, 0x7fff
	v_mov_b32_e32 v18, 0x7fc00000
	v_mov_b32_e32 v19, 0x7fc0
	v_mov_b64_e32 v[16:17], v[12:13]
	v_mov_b64_e32 v[8:9], v[6:7]
	;; [unrolled: 1-line block ×4, first 2 shown]
.LBB21_9:                               ; =>This Inner Loop Header: Depth=1
	v_not_b32_e32 v21, v9
	v_not_b32_e32 v20, v8
	;; [unrolled: 1-line block ×8, first 2 shown]
	v_ffbh_u32_e32 v34, v9
	v_ffbh_u32_e32 v35, v11
	;; [unrolled: 1-line block ×4, first 2 shown]
	v_lshl_add_u64 v[26:27], s[36:37], 0, v[26:27]
	v_lshl_add_u64 v[24:25], s[18:19], 0, v[24:25]
	;; [unrolled: 1-line block ×4, first 2 shown]
	v_min_u32_e32 v38, 32, v34
	v_min_u32_e32 v39, 32, v35
	;; [unrolled: 1-line block ×4, first 2 shown]
	v_xor_b32_e32 v43, v20, v21
	v_xor_b32_e32 v45, v22, v23
	;; [unrolled: 1-line block ×4, first 2 shown]
	v_ffbh_i32_e32 v44, v21
	v_ffbh_i32_e32 v46, v23
	;; [unrolled: 1-line block ×4, first 2 shown]
	v_lshlrev_b64 v[34:35], v38, v[8:9]
	v_sub_u32_e32 v51, 32, v38
	v_lshlrev_b64 v[36:37], v39, v[10:11]
	v_sub_u32_e32 v52, 32, v39
	;; [unrolled: 2-line block ×3, first 2 shown]
	v_lshlrev_b64 v[40:41], v42, v[6:7]
	v_ashrrev_i32_e32 v43, 31, v43
	v_ashrrev_i32_e32 v45, 31, v45
	;; [unrolled: 1-line block ×4, first 2 shown]
	v_add_u32_e32 v44, -1, v44
	v_add_u32_e32 v46, -1, v46
	;; [unrolled: 1-line block ×4, first 2 shown]
	v_min_u32_e32 v34, 1, v34
	v_min_u32_e32 v36, 1, v36
	;; [unrolled: 1-line block ×4, first 2 shown]
	v_add_u32_e32 v43, 32, v43
	v_add_u32_e32 v45, 32, v45
	;; [unrolled: 1-line block ×4, first 2 shown]
	v_or_b32_e32 v34, v35, v34
	v_or_b32_e32 v35, v37, v36
	;; [unrolled: 1-line block ×4, first 2 shown]
	v_min_u32_e32 v38, v44, v43
	v_min_u32_e32 v39, v46, v45
	;; [unrolled: 1-line block ×4, first 2 shown]
	v_cvt_f32_u32_e32 v34, v34
	v_cvt_f32_u32_e32 v35, v35
	v_lshlrev_b64 v[20:21], v38, v[20:21]
	v_lshlrev_b64 v[22:23], v39, v[22:23]
	;; [unrolled: 1-line block ×4, first 2 shown]
	v_cvt_f32_u32_e32 v36, v36
	v_cvt_f32_u32_e32 v37, v37
	v_min_u32_e32 v20, 1, v20
	v_min_u32_e32 v22, 1, v22
	;; [unrolled: 1-line block ×4, first 2 shown]
	v_or_b32_e32 v20, v21, v20
	v_or_b32_e32 v21, v23, v22
	;; [unrolled: 1-line block ×4, first 2 shown]
	v_cvt_f32_i32_e32 v24, v20
	v_cvt_f32_i32_e32 v25, v21
	;; [unrolled: 1-line block ×4, first 2 shown]
	v_sub_u32_e32 v42, 32, v42
	v_ldexp_f32 v20, v34, v51
	v_ldexp_f32 v21, v35, v52
	;; [unrolled: 1-line block ×4, first 2 shown]
	v_bfe_u32 v36, v21, 16, 1
	v_bfe_u32 v37, v20, 16, 1
	v_sub_u32_e32 v38, 32, v38
	v_sub_u32_e32 v39, 32, v39
	v_sub_u32_e32 v40, 32, v40
	v_sub_u32_e32 v41, 32, v41
	v_bfe_u32 v34, v23, 16, 1
	v_bfe_u32 v35, v22, 16, 1
	v_add3_u32 v37, v20, v37, s61
	v_add3_u32 v36, v21, v36, s61
	;; [unrolled: 1-line block ×4, first 2 shown]
	v_and_b32_e32 v23, 0xffff0000, v36
	v_and_b32_e32 v22, 0xffff0000, v37
	v_ldexp_f32 v24, v24, v38
	v_ldexp_f32 v25, v25, v39
	;; [unrolled: 1-line block ×4, first 2 shown]
	v_and_b32_e32 v21, 0xffff0000, v21
	v_and_b32_e32 v20, 0xffff0000, v20
	v_pk_mul_f32 v[22:23], s[22:23], v[22:23]
	v_bfe_u32 v34, v27, 16, 1
	v_bfe_u32 v35, v26, 16, 1
	;; [unrolled: 1-line block ×4, first 2 shown]
	v_pk_mul_f32 v[20:21], s[14:15], v[20:21]
	v_bfe_u32 v39, v23, 16, 1
	v_add3_u32 v37, v24, v37, s61
	v_add3_u32 v36, v25, v36, s61
	;; [unrolled: 1-line block ×4, first 2 shown]
	v_lshl_add_u64 v[16:17], v[16:17], 0, -4
	v_bfe_u32 v38, v22, 16, 1
	v_bfe_u32 v40, v20, 16, 1
	;; [unrolled: 1-line block ×3, first 2 shown]
	v_add3_u32 v39, v23, v39, s61
	v_and_b32_e32 v25, 0xffff0000, v25
	v_and_b32_e32 v24, 0xffff0000, v24
	v_cmp_eq_u64_e32 vcc, 0, v[16:17]
	v_add3_u32 v34, v21, v41, s61
	v_add3_u32 v35, v20, v40, s61
	;; [unrolled: 1-line block ×3, first 2 shown]
	v_and_b32_e32 v27, 0xffff0000, v36
	v_and_b32_e32 v26, 0xffff0000, v37
	;; [unrolled: 1-line block ×3, first 2 shown]
	v_cmp_o_f32_e64 s[2:3], v23, v23
	v_cmp_o_f32_e64 s[4:5], v22, v22
	v_pk_mul_f32 v[22:23], s[14:15], v[24:25]
	s_or_b64 s[54:55], vcc, s[54:55]
	v_and_b32_e32 v36, 0xffff0000, v38
	v_and_b32_e32 v35, 0xffff0000, v35
	;; [unrolled: 1-line block ×3, first 2 shown]
	v_cmp_o_f32_e32 vcc, v21, v21
	v_cmp_o_f32_e64 s[0:1], v20, v20
	v_pk_mul_f32 v[20:21], s[22:23], v[26:27]
	v_cndmask_b32_e64 v27, v18, v37, s[2:3]
	v_bfe_u32 v37, v22, 16, 1
	v_cndmask_b32_e32 v25, v18, v34, vcc
	v_cndmask_b32_e64 v24, v18, v35, s[0:1]
	v_cndmask_b32_e64 v26, v18, v36, s[4:5]
	v_bfe_u32 v34, v21, 16, 1
	v_bfe_u32 v35, v20, 16, 1
	;; [unrolled: 1-line block ×3, first 2 shown]
	v_add3_u32 v37, v22, v37, s61
	v_add3_u32 v36, v23, v36, s61
	;; [unrolled: 1-line block ×4, first 2 shown]
	v_and_b32_e32 v37, 0xffff0000, v37
	v_cmp_o_f32_e64 s[4:5], v22, v22
	v_and_b32_e32 v34, 0xffff0000, v34
	v_and_b32_e32 v35, 0xffff0000, v35
	;; [unrolled: 1-line block ×3, first 2 shown]
	v_cmp_o_f32_e32 vcc, v23, v23
	v_cmp_o_f32_e64 s[0:1], v20, v20
	v_cmp_o_f32_e64 s[2:3], v21, v21
	v_cndmask_b32_e64 v20, v18, v37, s[4:5]
	v_pk_add_f32 v[24:25], v[24:25], s[16:17]
	v_cndmask_b32_e32 v21, v18, v36, vcc
	v_cndmask_b32_e64 v22, v18, v35, s[0:1]
	v_cndmask_b32_e64 v23, v18, v34, s[2:3]
	v_sub_f32_e32 v20, s33, v20
	v_cmp_gt_i64_e64 s[4:5], s[26:27], v[4:5]
	v_pk_add_f32 v[26:27], v[26:27], s[24:25]
	v_sub_f32_e32 v23, s60, v23
	v_cmp_gt_i64_e32 vcc, s[34:35], v[10:11]
	v_sub_f32_e32 v22, s59, v22
	v_cmp_gt_i64_e64 s[0:1], s[30:31], v[8:9]
	v_sub_f32_e32 v21, s58, v21
	v_cmp_gt_i64_e64 s[2:3], s[28:29], v[6:7]
	v_cndmask_b32_e64 v20, v20, v24, s[4:5]
	v_cndmask_b32_e64 v22, v22, v26, s[0:1]
	;; [unrolled: 1-line block ×3, first 2 shown]
	v_cndmask_b32_e32 v23, v23, v27, vcc
	v_bfe_u32 v27, v20, 16, 1
	v_bfe_u32 v24, v23, 16, 1
	;; [unrolled: 1-line block ×4, first 2 shown]
	v_add3_u32 v27, v20, v27, s61
	v_add3_u32 v26, v21, v26, s61
	;; [unrolled: 1-line block ×4, first 2 shown]
	v_lshrrev_b32_e32 v27, 16, v27
	v_cmp_o_f32_e64 s[2:3], v20, v20
	v_lshrrev_b32_e32 v24, 16, v24
	v_lshrrev_b32_e32 v25, 16, v25
	;; [unrolled: 1-line block ×3, first 2 shown]
	v_cmp_o_f32_e32 vcc, v22, v22
	v_cmp_o_f32_e64 s[0:1], v21, v21
	v_cmp_o_f32_e64 s[4:5], v23, v23
	v_cndmask_b32_e64 v23, v19, v27, s[2:3]
	v_lshl_add_u64 v[28:29], v[14:15], 0, s[42:43]
	v_lshl_add_u64 v[30:31], v[14:15], 0, s[44:45]
	;; [unrolled: 1-line block ×7, first 2 shown]
	v_cndmask_b32_e64 v20, v19, v24, s[4:5]
	v_cndmask_b32_e32 v21, v19, v25, vcc
	v_cndmask_b32_e64 v22, v19, v26, s[0:1]
	global_store_short v[14:15], v23, off
	global_store_short v[28:29], v22, off
	;; [unrolled: 1-line block ×4, first 2 shown]
	v_lshl_add_u64 v[14:15], v[14:15], 0, s[56:57]
	s_andn2_b64 exec, exec, s[54:55]
	s_cbranch_execnz .LBB21_9
; %bb.10:
	s_or_b64 exec, exec, s[54:55]
	v_mad_u64_u32 v[2:3], s[0:1], v12, s12, v[2:3]
	v_mul_lo_u32 v4, v12, s13
	v_mul_lo_u32 v5, v13, s12
	v_cmp_ne_u64_e32 vcc, v[0:1], v[12:13]
	v_add3_u32 v3, v5, v3, v4
	v_mov_b64_e32 v[4:5], s[42:43]
	s_and_b64 s[0:1], vcc, exec
	s_andn2_saveexec_b64 s[2:3], s[20:21]
	s_cbranch_execz .LBB21_7
.LBB21_11:
	s_lshl_b64 s[4:5], s[12:13], 1
	v_mov_b64_e32 v[4:5], s[4:5]
	s_or_b64 s[0:1], s[0:1], exec
	s_or_b64 exec, exec, s[2:3]
	s_and_b64 exec, exec, s[0:1]
	s_cbranch_execz .LBB21_18
.LBB21_12:
	v_not_b32_e32 v1, v3
	v_not_b32_e32 v0, v2
	v_lshl_add_u64 v[0:1], v[0:1], 0, s[18:19]
	v_lshl_add_u64 v[6:7], v[2:3], 1, s[10:11]
	s_mov_b64 s[0:1], 0
	s_movk_i32 s4, 0x7fff
	v_mov_b32_e32 v8, 0x7fc0
	v_mov_b32_e32 v9, s13
	;; [unrolled: 1-line block ×3, first 2 shown]
	s_branch .LBB21_14
.LBB21_13:                              ;   in Loop: Header=BB21_14 Depth=1
	s_or_b64 exec, exec, s[2:3]
	v_bfe_u32 v12, v11, 16, 1
	v_add3_u32 v12, v11, v12, s4
	v_cmp_o_f32_e32 vcc, v11, v11
	v_lshl_add_u64 v[2:3], v[2:3], 0, s[12:13]
	s_nop 0
	v_cndmask_b32_sdwa v11, v8, v12, vcc dst_sel:DWORD dst_unused:UNUSED_PAD src0_sel:DWORD src1_sel:WORD_1
	v_subrev_co_u32_e32 v0, vcc, s12, v0
	global_store_short v[6:7], v11, off
	s_nop 0
	v_subb_co_u32_e32 v1, vcc, v1, v9, vcc
	v_cmp_le_i64_e32 vcc, s[6:7], v[2:3]
	s_or_b64 s[0:1], vcc, s[0:1]
	v_lshl_add_u64 v[6:7], v[6:7], 0, v[4:5]
	s_andn2_b64 exec, exec, s[0:1]
	s_cbranch_execz .LBB21_18
.LBB21_14:                              ; =>This Inner Loop Header: Depth=1
	v_cmp_le_i64_e32 vcc, s[8:9], v[2:3]
                                        ; implicit-def: $vgpr11
	s_and_saveexec_b64 s[2:3], vcc
	s_xor_b64 s[2:3], exec, s[2:3]
	s_cbranch_execz .LBB21_16
; %bb.15:                               ;   in Loop: Header=BB21_14 Depth=1
	v_xor_b32_e32 v12, v0, v1
	v_ffbh_i32_e32 v11, v1
	v_ashrrev_i32_e32 v12, 31, v12
	v_add_u32_e32 v11, -1, v11
	v_add_u32_e32 v12, 32, v12
	v_min_u32_e32 v11, v11, v12
	v_lshlrev_b64 v[12:13], v11, v[0:1]
	v_min_u32_e32 v12, 1, v12
	v_or_b32_e32 v12, v13, v12
	v_cvt_f32_i32_e32 v12, v12
	v_sub_u32_e32 v11, 32, v11
	v_ldexp_f32 v11, v12, v11
	v_bfe_u32 v12, v11, 16, 1
	v_add3_u32 v11, v11, v12, s4
	v_and_b32_e32 v11, 0xffff0000, v11
	v_mul_f32_e32 v11, s14, v11
	v_bfe_u32 v12, v11, 16, 1
	v_add3_u32 v12, v11, v12, s4
	v_and_b32_e32 v12, 0xffff0000, v12
	v_cmp_o_f32_e32 vcc, v11, v11
	s_nop 1
	v_cndmask_b32_e32 v11, v10, v12, vcc
	v_sub_f32_e32 v11, s33, v11
.LBB21_16:                              ;   in Loop: Header=BB21_14 Depth=1
	s_andn2_saveexec_b64 s[2:3], s[2:3]
	s_cbranch_execz .LBB21_13
; %bb.17:                               ;   in Loop: Header=BB21_14 Depth=1
	v_ffbh_u32_e32 v11, v3
	v_min_u32_e32 v11, 32, v11
	v_lshlrev_b64 v[12:13], v11, v[2:3]
	v_min_u32_e32 v12, 1, v12
	v_or_b32_e32 v12, v13, v12
	v_cvt_f32_u32_e32 v12, v12
	v_sub_u32_e32 v11, 32, v11
	v_ldexp_f32 v11, v12, v11
	v_bfe_u32 v12, v11, 16, 1
	v_add3_u32 v11, v11, v12, s4
	v_and_b32_e32 v11, 0xffff0000, v11
	v_mul_f32_e32 v11, s14, v11
	v_bfe_u32 v12, v11, 16, 1
	v_add3_u32 v12, v11, v12, s4
	v_and_b32_e32 v12, 0xffff0000, v12
	v_cmp_o_f32_e32 vcc, v11, v11
	s_nop 1
	v_cndmask_b32_e32 v11, v10, v12, vcc
	v_add_f32_e32 v11, s16, v11
	s_branch .LBB21_13
.LBB21_18:
	s_endpgm
	.section	.rodata,"a",@progbits
	.p2align	6, 0x0
	.amdhsa_kernel _ZN12_GLOBAL__N_141elementwise_kernel_with_index_grid_strideIlZZZN2at6native17linspace_cuda_outERKN3c106ScalarES6_lRNS1_6TensorEENKUlvE0_clEvENKUlvE4_clEvEUllE_EEvT_T0_PN15function_traitsISD_E11result_typeE
		.amdhsa_group_segment_fixed_size 0
		.amdhsa_private_segment_fixed_size 0
		.amdhsa_kernarg_size 304
		.amdhsa_user_sgpr_count 2
		.amdhsa_user_sgpr_dispatch_ptr 0
		.amdhsa_user_sgpr_queue_ptr 0
		.amdhsa_user_sgpr_kernarg_segment_ptr 1
		.amdhsa_user_sgpr_dispatch_id 0
		.amdhsa_user_sgpr_kernarg_preload_length 0
		.amdhsa_user_sgpr_kernarg_preload_offset 0
		.amdhsa_user_sgpr_private_segment_size 0
		.amdhsa_uses_dynamic_stack 0
		.amdhsa_enable_private_segment 0
		.amdhsa_system_sgpr_workgroup_id_x 1
		.amdhsa_system_sgpr_workgroup_id_y 0
		.amdhsa_system_sgpr_workgroup_id_z 0
		.amdhsa_system_sgpr_workgroup_info 0
		.amdhsa_system_vgpr_workitem_id 0
		.amdhsa_next_free_vgpr 54
		.amdhsa_next_free_sgpr 62
		.amdhsa_accum_offset 56
		.amdhsa_reserve_vcc 1
		.amdhsa_float_round_mode_32 0
		.amdhsa_float_round_mode_16_64 0
		.amdhsa_float_denorm_mode_32 3
		.amdhsa_float_denorm_mode_16_64 3
		.amdhsa_dx10_clamp 1
		.amdhsa_ieee_mode 1
		.amdhsa_fp16_overflow 0
		.amdhsa_tg_split 0
		.amdhsa_exception_fp_ieee_invalid_op 0
		.amdhsa_exception_fp_denorm_src 0
		.amdhsa_exception_fp_ieee_div_zero 0
		.amdhsa_exception_fp_ieee_overflow 0
		.amdhsa_exception_fp_ieee_underflow 0
		.amdhsa_exception_fp_ieee_inexact 0
		.amdhsa_exception_int_div_zero 0
	.end_amdhsa_kernel
	.section	.text._ZN12_GLOBAL__N_141elementwise_kernel_with_index_grid_strideIlZZZN2at6native17linspace_cuda_outERKN3c106ScalarES6_lRNS1_6TensorEENKUlvE0_clEvENKUlvE4_clEvEUllE_EEvT_T0_PN15function_traitsISD_E11result_typeE,"axG",@progbits,_ZN12_GLOBAL__N_141elementwise_kernel_with_index_grid_strideIlZZZN2at6native17linspace_cuda_outERKN3c106ScalarES6_lRNS1_6TensorEENKUlvE0_clEvENKUlvE4_clEvEUllE_EEvT_T0_PN15function_traitsISD_E11result_typeE,comdat
.Lfunc_end21:
	.size	_ZN12_GLOBAL__N_141elementwise_kernel_with_index_grid_strideIlZZZN2at6native17linspace_cuda_outERKN3c106ScalarES6_lRNS1_6TensorEENKUlvE0_clEvENKUlvE4_clEvEUllE_EEvT_T0_PN15function_traitsISD_E11result_typeE, .Lfunc_end21-_ZN12_GLOBAL__N_141elementwise_kernel_with_index_grid_strideIlZZZN2at6native17linspace_cuda_outERKN3c106ScalarES6_lRNS1_6TensorEENKUlvE0_clEvENKUlvE4_clEvEUllE_EEvT_T0_PN15function_traitsISD_E11result_typeE
                                        ; -- End function
	.set _ZN12_GLOBAL__N_141elementwise_kernel_with_index_grid_strideIlZZZN2at6native17linspace_cuda_outERKN3c106ScalarES6_lRNS1_6TensorEENKUlvE0_clEvENKUlvE4_clEvEUllE_EEvT_T0_PN15function_traitsISD_E11result_typeE.num_vgpr, 54
	.set _ZN12_GLOBAL__N_141elementwise_kernel_with_index_grid_strideIlZZZN2at6native17linspace_cuda_outERKN3c106ScalarES6_lRNS1_6TensorEENKUlvE0_clEvENKUlvE4_clEvEUllE_EEvT_T0_PN15function_traitsISD_E11result_typeE.num_agpr, 0
	.set _ZN12_GLOBAL__N_141elementwise_kernel_with_index_grid_strideIlZZZN2at6native17linspace_cuda_outERKN3c106ScalarES6_lRNS1_6TensorEENKUlvE0_clEvENKUlvE4_clEvEUllE_EEvT_T0_PN15function_traitsISD_E11result_typeE.numbered_sgpr, 62
	.set _ZN12_GLOBAL__N_141elementwise_kernel_with_index_grid_strideIlZZZN2at6native17linspace_cuda_outERKN3c106ScalarES6_lRNS1_6TensorEENKUlvE0_clEvENKUlvE4_clEvEUllE_EEvT_T0_PN15function_traitsISD_E11result_typeE.num_named_barrier, 0
	.set _ZN12_GLOBAL__N_141elementwise_kernel_with_index_grid_strideIlZZZN2at6native17linspace_cuda_outERKN3c106ScalarES6_lRNS1_6TensorEENKUlvE0_clEvENKUlvE4_clEvEUllE_EEvT_T0_PN15function_traitsISD_E11result_typeE.private_seg_size, 0
	.set _ZN12_GLOBAL__N_141elementwise_kernel_with_index_grid_strideIlZZZN2at6native17linspace_cuda_outERKN3c106ScalarES6_lRNS1_6TensorEENKUlvE0_clEvENKUlvE4_clEvEUllE_EEvT_T0_PN15function_traitsISD_E11result_typeE.uses_vcc, 1
	.set _ZN12_GLOBAL__N_141elementwise_kernel_with_index_grid_strideIlZZZN2at6native17linspace_cuda_outERKN3c106ScalarES6_lRNS1_6TensorEENKUlvE0_clEvENKUlvE4_clEvEUllE_EEvT_T0_PN15function_traitsISD_E11result_typeE.uses_flat_scratch, 0
	.set _ZN12_GLOBAL__N_141elementwise_kernel_with_index_grid_strideIlZZZN2at6native17linspace_cuda_outERKN3c106ScalarES6_lRNS1_6TensorEENKUlvE0_clEvENKUlvE4_clEvEUllE_EEvT_T0_PN15function_traitsISD_E11result_typeE.has_dyn_sized_stack, 0
	.set _ZN12_GLOBAL__N_141elementwise_kernel_with_index_grid_strideIlZZZN2at6native17linspace_cuda_outERKN3c106ScalarES6_lRNS1_6TensorEENKUlvE0_clEvENKUlvE4_clEvEUllE_EEvT_T0_PN15function_traitsISD_E11result_typeE.has_recursion, 0
	.set _ZN12_GLOBAL__N_141elementwise_kernel_with_index_grid_strideIlZZZN2at6native17linspace_cuda_outERKN3c106ScalarES6_lRNS1_6TensorEENKUlvE0_clEvENKUlvE4_clEvEUllE_EEvT_T0_PN15function_traitsISD_E11result_typeE.has_indirect_call, 0
	.section	.AMDGPU.csdata,"",@progbits
; Kernel info:
; codeLenInByte = 3072
; TotalNumSgprs: 68
; NumVgprs: 54
; NumAgprs: 0
; TotalNumVgprs: 54
; ScratchSize: 0
; MemoryBound: 0
; FloatMode: 240
; IeeeMode: 1
; LDSByteSize: 0 bytes/workgroup (compile time only)
; SGPRBlocks: 8
; VGPRBlocks: 6
; NumSGPRsForWavesPerEU: 68
; NumVGPRsForWavesPerEU: 54
; AccumOffset: 56
; Occupancy: 8
; WaveLimiterHint : 0
; COMPUTE_PGM_RSRC2:SCRATCH_EN: 0
; COMPUTE_PGM_RSRC2:USER_SGPR: 2
; COMPUTE_PGM_RSRC2:TRAP_HANDLER: 0
; COMPUTE_PGM_RSRC2:TGID_X_EN: 1
; COMPUTE_PGM_RSRC2:TGID_Y_EN: 0
; COMPUTE_PGM_RSRC2:TGID_Z_EN: 0
; COMPUTE_PGM_RSRC2:TIDIG_COMP_CNT: 0
; COMPUTE_PGM_RSRC3_GFX90A:ACCUM_OFFSET: 13
; COMPUTE_PGM_RSRC3_GFX90A:TG_SPLIT: 0
	.section	.text._ZN12_GLOBAL__N_141elementwise_kernel_with_index_grid_strideIiZZZN2at6native17logspace_cuda_outERKN3c106ScalarES6_ldRNS1_6TensorEENKUlvE_clEvENKUlvE_clEvEUllE_EEvT_T0_PN15function_traitsISD_E11result_typeE,"axG",@progbits,_ZN12_GLOBAL__N_141elementwise_kernel_with_index_grid_strideIiZZZN2at6native17logspace_cuda_outERKN3c106ScalarES6_ldRNS1_6TensorEENKUlvE_clEvENKUlvE_clEvEUllE_EEvT_T0_PN15function_traitsISD_E11result_typeE,comdat
	.globl	_ZN12_GLOBAL__N_141elementwise_kernel_with_index_grid_strideIiZZZN2at6native17logspace_cuda_outERKN3c106ScalarES6_ldRNS1_6TensorEENKUlvE_clEvENKUlvE_clEvEUllE_EEvT_T0_PN15function_traitsISD_E11result_typeE ; -- Begin function _ZN12_GLOBAL__N_141elementwise_kernel_with_index_grid_strideIiZZZN2at6native17logspace_cuda_outERKN3c106ScalarES6_ldRNS1_6TensorEENKUlvE_clEvENKUlvE_clEvEUllE_EEvT_T0_PN15function_traitsISD_E11result_typeE
	.p2align	8
	.type	_ZN12_GLOBAL__N_141elementwise_kernel_with_index_grid_strideIiZZZN2at6native17logspace_cuda_outERKN3c106ScalarES6_ldRNS1_6TensorEENKUlvE_clEvENKUlvE_clEvEUllE_EEvT_T0_PN15function_traitsISD_E11result_typeE,@function
_ZN12_GLOBAL__N_141elementwise_kernel_with_index_grid_strideIiZZZN2at6native17logspace_cuda_outERKN3c106ScalarES6_ldRNS1_6TensorEENKUlvE_clEvENKUlvE_clEvEUllE_EEvT_T0_PN15function_traitsISD_E11result_typeE: ; @_ZN12_GLOBAL__N_141elementwise_kernel_with_index_grid_strideIiZZZN2at6native17logspace_cuda_outERKN3c106ScalarES6_ldRNS1_6TensorEENKUlvE_clEvENKUlvE_clEvEUllE_EEvT_T0_PN15function_traitsISD_E11result_typeE
; %bb.0:
	s_load_dword s3, s[0:1], 0x3c
	s_load_dword s14, s[0:1], 0x0
	s_add_u32 s8, s0, 48
	s_addc_u32 s9, s1, 0
	s_waitcnt lgkmcnt(0)
	s_and_b32 s3, s3, 0xffff
	s_mul_i32 s2, s2, s3
	v_add_u32_e32 v0, s2, v0
	v_cmp_gt_i32_e32 vcc, s14, v0
	s_and_saveexec_b64 s[4:5], vcc
	s_cbranch_execz .LBB22_7
; %bb.1:
	s_load_dword s2, s[8:9], 0x0
	s_load_dwordx4 s[16:19], s[0:1], 0x8
	s_load_dword s15, s[0:1], 0x18
	s_load_dwordx4 s[4:7], s[0:1], 0x20
	v_ashrrev_i32_e32 v1, 31, v0
	s_waitcnt lgkmcnt(0)
	s_mul_i32 s8, s2, s3
	v_not_b32_e32 v3, v1
	v_not_b32_e32 v2, v0
	s_ashr_i32 s9, s8, 31
                                        ; implicit-def: $vgpr8
	v_cvt_f32_ubyte1_e32 v4, s16
	v_cvt_f32_ubyte0_e32 v5, s16
	v_cmp_eq_f32_e64 s[10:11], s17, 1.0
	v_lshl_add_u64 v[2:3], v[2:3], 0, s[18:19]
	s_mov_b64 s[12:13], 0
	v_mov_b32_e32 v6, s17
	s_mov_b32 s16, 0x3f2aaaab
	v_mov_b32_e32 v7, 0x3e91f4c4
	s_mov_b32 s17, 0x3f317218
	s_movk_i32 s18, 0x204
	s_mov_b32 s19, 0x7f800000
	s_mov_b32 s20, 0x42b17218
	v_mov_b32_e32 v8, 0x37000000
	s_mov_b32 s21, 0x3fb8aa3b
	s_mov_b32 s22, 0xc2ce8ed0
	v_mov_b32_e32 v9, 0x7f800000
	s_brev_b32 s23, -2
	v_mov_b32_e32 v10, 0x7fc00000
	v_mov_b32_e32 v11, s9
	s_branch .LBB22_3
.LBB22_2:                               ;   in Loop: Header=BB22_3 Depth=1
	s_or_b64 exec, exec, s[0:1]
	v_cndmask_b32_e64 v26, v12, 1.0, s[10:11]
	v_cmp_neq_f32_e32 vcc, 0, v26
	v_cmp_neq_f32_e64 s[2:3], v26, |v26|
	s_nop 0
	v_cndmask_b32_e32 v27, 1.0, v6, vcc
	v_frexp_mant_f32_e64 v12, |v27|
	v_cmp_gt_f32_e32 vcc, s16, v12
	v_cmp_lt_f32_e64 s[24:25], |v27|, 1.0
	s_xor_b64 s[2:3], s[2:3], s[24:25]
	v_cndmask_b32_e64 v13, 1.0, 2.0, vcc
	v_mul_f32_e32 v12, v12, v13
	v_add_f32_e32 v15, 1.0, v12
	v_rcp_f32_e32 v20, v15
	v_add_f32_e32 v13, -1.0, v15
	v_sub_f32_e32 v17, v12, v13
	v_add_f32_e32 v13, -1.0, v12
	v_mul_f32_e32 v21, v13, v20
	v_mul_f32_e32 v14, v15, v21
	v_fma_f32 v16, v21, v15, -v14
	v_fmac_f32_e32 v16, v21, v17
	v_add_f32_e32 v12, v14, v16
	v_sub_f32_e32 v15, v13, v12
	v_pk_add_f32 v[18:19], v[12:13], v[14:15] neg_lo:[0,1] neg_hi:[0,1]
	v_mov_b32_e32 v17, v12
	v_pk_add_f32 v[12:13], v[18:19], v[16:17] neg_lo:[0,1] neg_hi:[0,1]
	v_cmp_class_f32_e64 s[24:25], v27, s18
	v_add_f32_e32 v12, v12, v13
	v_add_f32_e32 v12, v15, v12
	v_mul_f32_e32 v13, v20, v12
	v_add_f32_e32 v12, v21, v13
	v_sub_f32_e32 v14, v12, v21
	v_sub_f32_e32 v22, v13, v14
	v_mul_f32_e32 v13, v12, v12
	v_fma_f32 v15, v12, v12, -v13
	v_add_f32_e32 v14, v22, v22
	v_fmac_f32_e32 v15, v12, v14
	v_add_f32_e32 v14, v13, v15
	v_fmamk_f32 v16, v14, 0x3e76c4e1, v7
	v_fmaak_f32 v16, v14, v16, 0x3ecccdef
	v_sub_f32_e32 v13, v14, v13
	v_sub_f32_e32 v23, v15, v13
	v_mul_f32_e32 v13, v14, v16
	v_fma_f32 v15, v14, v16, -v13
	v_fmac_f32_e32 v15, v23, v16
	v_add_f32_e32 v16, v13, v15
	v_add_f32_e32 v17, 0x3f2aaaaa, v16
	v_sub_f32_e32 v13, v16, v13
	v_sub_f32_e32 v13, v15, v13
	v_add_f32_e32 v15, 0xbf2aaaaa, v17
	v_add_f32_e32 v13, 0x31739010, v13
	v_sub_f32_e32 v15, v16, v15
	v_pk_mul_f32 v[18:19], v[12:13], v[14:15]
	v_pk_add_f32 v[20:21], v[12:13], v[14:15]
	v_fma_f32 v16, v14, v12, -v18
	v_fmac_f32_e32 v16, v14, v22
	v_mov_b32_e32 v19, v21
	v_fmac_f32_e32 v16, v23, v12
	v_pk_add_f32 v[14:15], v[18:19], v[16:17]
	v_ldexp_f32 v24, v22, 1
	v_sub_f32_e32 v13, v14, v18
	v_sub_f32_e32 v13, v16, v13
	;; [unrolled: 1-line block ×3, first 2 shown]
	v_add_f32_e32 v20, v21, v16
	v_pk_mul_f32 v[16:17], v[14:15], v[14:15] op_sel:[0,1] op_sel_hi:[1,0]
	v_cvt_f64_f32_e64 v[18:19], |v27|
	v_frexp_exp_i32_f64_e32 v17, v[18:19]
	v_subbrev_co_u32_e32 v17, vcc, 0, v17, vcc
	v_cvt_f32_i32_e32 v17, v17
	v_fma_f32 v18, v14, v15, -v16
	v_fmac_f32_e32 v18, v14, v20
	v_fmac_f32_e32 v18, v13, v15
	v_mul_f32_e32 v14, 0x3f317218, v17
	v_fma_f32 v20, v17, s17, -v14
	v_fmac_f32_e32 v20, 0xb102e308, v17
	v_ldexp_f32 v21, v12, 1
	v_add_f32_e32 v15, v16, v18
	v_pk_add_f32 v[12:13], v[14:15], v[20:21]
	v_mov_b32_e32 v22, v15
	v_mov_b32_e32 v23, v13
	;; [unrolled: 1-line block ×3, first 2 shown]
	v_pk_add_f32 v[16:17], v[22:23], v[16:17] neg_lo:[0,1] neg_hi:[0,1]
	v_mov_b32_e32 v19, v15
	v_pk_add_f32 v[16:17], v[18:19], v[16:17] neg_lo:[0,1] neg_hi:[0,1]
	v_mov_b32_e32 v21, v12
	v_add_f32_e32 v15, v24, v16
	v_add_f32_e32 v15, v15, v17
	v_pk_add_f32 v[16:17], v[12:13], v[14:15] neg_lo:[0,1] neg_hi:[0,1]
	v_pk_add_f32 v[18:19], v[12:13], v[14:15]
	v_mov_b32_e32 v14, v15
	v_mov_b32_e32 v17, v19
	v_pk_add_f32 v[22:23], v[20:21], v[16:17] neg_lo:[0,1] neg_hi:[0,1]
	v_pk_add_f32 v[16:17], v[20:21], v[16:17]
	v_mov_b32_e32 v15, v12
	v_pk_add_f32 v[20:21], v[16:17], v[12:13] op_sel:[1,0] op_sel_hi:[0,1] neg_lo:[0,1] neg_hi:[0,1]
	v_pk_add_f32 v[24:25], v[18:19], v[20:21] op_sel_hi:[1,0] neg_lo:[0,1] neg_hi:[0,1]
	v_mov_b32_e32 v18, v19
	v_mov_b32_e32 v19, v17
	v_pk_mov_b32 v[20:21], v[12:13], v[20:21] op_sel:[1,0]
	v_mov_b32_e32 v24, v22
	v_pk_add_f32 v[18:19], v[18:19], v[20:21] neg_lo:[0,1] neg_hi:[0,1]
	v_mov_b32_e32 v23, v17
	v_pk_add_f32 v[12:13], v[14:15], v[18:19] neg_lo:[0,1] neg_hi:[0,1]
	s_nop 0
	v_pk_add_f32 v[14:15], v[24:25], v[12:13]
	s_nop 0
	v_pk_add_f32 v[18:19], v[14:15], v[14:15] op_sel:[0,1] op_sel_hi:[1,0]
	s_nop 0
	v_pk_add_f32 v[16:17], v[16:17], v[18:19] op_sel:[1,0] op_sel_hi:[0,1]
	v_mov_b32_e32 v15, v16
	v_pk_add_f32 v[20:21], v[14:15], v[22:23] neg_lo:[0,1] neg_hi:[0,1]
	v_mov_b32_e32 v13, v18
	v_sub_f32_e32 v14, v14, v20
	v_pk_add_f32 v[12:13], v[12:13], v[20:21] neg_lo:[0,1] neg_hi:[0,1]
	v_sub_f32_e32 v14, v22, v14
	v_add_f32_e32 v12, v12, v14
	v_add_f32_e32 v12, v12, v13
	;; [unrolled: 1-line block ×3, first 2 shown]
	v_sub_f32_e32 v14, v13, v16
	v_sub_f32_e32 v12, v12, v14
	v_mul_f32_e32 v14, v26, v13
	v_fma_f32 v13, v26, v13, -v14
	v_fmac_f32_e32 v13, v26, v12
	v_add_f32_e32 v12, v14, v13
	v_cmp_class_f32_e64 vcc, v14, s18
	v_sub_f32_e32 v15, v12, v14
	v_sub_f32_e32 v13, v13, v15
	v_cndmask_b32_e32 v12, v12, v14, vcc
	v_cmp_eq_f32_e32 vcc, s20, v12
	s_nop 1
	v_cndmask_b32_e32 v14, 0, v8, vcc
	v_sub_f32_e32 v15, v12, v14
	v_mul_f32_e32 v16, 0x3fb8aa3b, v15
	v_fma_f32 v17, v15, s21, -v16
	v_rndne_f32_e32 v18, v16
	v_fmac_f32_e32 v17, 0x32a5705f, v15
	v_sub_f32_e32 v16, v16, v18
	v_add_f32_e32 v16, v16, v17
	v_exp_f32_e32 v16, v16
	v_cvt_i32_f32_e32 v17, v18
	v_cmp_neq_f32_e64 vcc, |v12|, s19
	s_nop 1
	v_cndmask_b32_e32 v12, 0, v13, vcc
	v_ldexp_f32 v13, v16, v17
	v_cmp_ngt_f32_e32 vcc, s22, v15
	v_add_f32_e32 v12, v14, v12
	s_nop 0
	v_cndmask_b32_e32 v13, 0, v13, vcc
	v_cmp_nlt_f32_e32 vcc, s20, v15
	s_nop 1
	v_cndmask_b32_e32 v13, v9, v13, vcc
	v_fma_f32 v12, v13, v12, v13
	v_cmp_class_f32_e64 vcc, v13, s18
	s_nop 1
	v_cndmask_b32_e32 v12, v12, v13, vcc
	v_trunc_f32_e32 v13, v26
	v_cmp_eq_f32_e32 vcc, v13, v26
	v_mul_f32_e32 v13, 0.5, v26
	v_trunc_f32_e32 v14, v13
	v_cmp_neq_f32_e64 s[0:1], v14, v13
	s_and_b64 s[0:1], vcc, s[0:1]
	s_nop 0
	v_cndmask_b32_e64 v13, 1.0, v27, s[0:1]
	v_bfi_b32 v12, s23, v12, v13
	v_cndmask_b32_e32 v13, v10, v12, vcc
	v_cmp_gt_f32_e32 vcc, 0, v27
	v_cndmask_b32_e64 v14, 0, v27, s[0:1]
	s_nop 0
	v_cndmask_b32_e32 v12, v12, v13, vcc
	v_cndmask_b32_e64 v13, v9, 0, s[2:3]
	v_cmp_neq_f32_e64 vcc, |v27|, 1.0
	v_cmp_gt_f32_e64 s[2:3], 0, v26
	s_nop 0
	v_cndmask_b32_e32 v13, 1.0, v13, vcc
	v_cmp_class_f32_e64 vcc, v26, s18
	s_nop 1
	v_cndmask_b32_e32 v12, v12, v13, vcc
	v_cmp_eq_f32_e32 vcc, 0, v27
	s_xor_b64 s[2:3], s[2:3], vcc
	v_cndmask_b32_e64 v13, v9, 0, s[2:3]
	v_bfi_b32 v13, s23, v13, v14
	s_or_b64 vcc, vcc, s[24:25]
	v_cndmask_b32_e32 v12, v12, v13, vcc
	v_cmp_o_f32_e32 vcc, v27, v26
	s_nop 1
	v_cndmask_b32_e32 v12, v10, v12, vcc
	v_cvt_i32_f32_e32 v14, v12
	v_lshl_add_u64 v[12:13], s[6:7], 0, v[0:1]
	v_lshl_add_u64 v[0:1], v[0:1], 0, s[8:9]
	v_cmp_le_i32_e32 vcc, s14, v0
	s_or_b64 s[12:13], vcc, s[12:13]
	v_subrev_co_u32_e32 v2, vcc, s8, v2
	global_store_byte v[12:13], v14, off
	s_nop 0
	v_subb_co_u32_e32 v3, vcc, v3, v11, vcc
	s_andn2_b64 exec, exec, s[12:13]
	s_cbranch_execz .LBB22_7
.LBB22_3:                               ; =>This Inner Loop Header: Depth=1
	v_cmp_le_i64_e32 vcc, s[4:5], v[0:1]
                                        ; implicit-def: $vgpr12
	s_and_saveexec_b64 s[0:1], vcc
	s_xor_b64 s[0:1], exec, s[0:1]
	s_cbranch_execz .LBB22_5
; %bb.4:                                ;   in Loop: Header=BB22_3 Depth=1
	v_xor_b32_e32 v13, v2, v3
	v_ffbh_i32_e32 v12, v3
	v_ashrrev_i32_e32 v13, 31, v13
	v_add_u32_e32 v12, -1, v12
	v_add_u32_e32 v13, 32, v13
	v_min_u32_e32 v14, v12, v13
	v_lshlrev_b64 v[12:13], v14, v[2:3]
	v_min_u32_e32 v12, 1, v12
	v_or_b32_e32 v12, v13, v12
	v_cvt_f32_i32_e32 v12, v12
	v_sub_u32_e32 v13, 32, v14
	v_ldexp_f32 v12, v12, v13
	v_fma_f32 v12, -s15, v12, v4
.LBB22_5:                               ;   in Loop: Header=BB22_3 Depth=1
	s_andn2_saveexec_b64 s[0:1], s[0:1]
	s_cbranch_execz .LBB22_2
; %bb.6:                                ;   in Loop: Header=BB22_3 Depth=1
	v_cvt_f32_i32_e32 v12, v0
	v_fma_f32 v12, s15, v12, v5
	s_branch .LBB22_2
.LBB22_7:
	s_endpgm
	.section	.rodata,"a",@progbits
	.p2align	6, 0x0
	.amdhsa_kernel _ZN12_GLOBAL__N_141elementwise_kernel_with_index_grid_strideIiZZZN2at6native17logspace_cuda_outERKN3c106ScalarES6_ldRNS1_6TensorEENKUlvE_clEvENKUlvE_clEvEUllE_EEvT_T0_PN15function_traitsISD_E11result_typeE
		.amdhsa_group_segment_fixed_size 0
		.amdhsa_private_segment_fixed_size 0
		.amdhsa_kernarg_size 304
		.amdhsa_user_sgpr_count 2
		.amdhsa_user_sgpr_dispatch_ptr 0
		.amdhsa_user_sgpr_queue_ptr 0
		.amdhsa_user_sgpr_kernarg_segment_ptr 1
		.amdhsa_user_sgpr_dispatch_id 0
		.amdhsa_user_sgpr_kernarg_preload_length 0
		.amdhsa_user_sgpr_kernarg_preload_offset 0
		.amdhsa_user_sgpr_private_segment_size 0
		.amdhsa_uses_dynamic_stack 0
		.amdhsa_enable_private_segment 0
		.amdhsa_system_sgpr_workgroup_id_x 1
		.amdhsa_system_sgpr_workgroup_id_y 0
		.amdhsa_system_sgpr_workgroup_id_z 0
		.amdhsa_system_sgpr_workgroup_info 0
		.amdhsa_system_vgpr_workitem_id 0
		.amdhsa_next_free_vgpr 28
		.amdhsa_next_free_sgpr 26
		.amdhsa_accum_offset 28
		.amdhsa_reserve_vcc 1
		.amdhsa_float_round_mode_32 0
		.amdhsa_float_round_mode_16_64 0
		.amdhsa_float_denorm_mode_32 3
		.amdhsa_float_denorm_mode_16_64 3
		.amdhsa_dx10_clamp 1
		.amdhsa_ieee_mode 1
		.amdhsa_fp16_overflow 0
		.amdhsa_tg_split 0
		.amdhsa_exception_fp_ieee_invalid_op 0
		.amdhsa_exception_fp_denorm_src 0
		.amdhsa_exception_fp_ieee_div_zero 0
		.amdhsa_exception_fp_ieee_overflow 0
		.amdhsa_exception_fp_ieee_underflow 0
		.amdhsa_exception_fp_ieee_inexact 0
		.amdhsa_exception_int_div_zero 0
	.end_amdhsa_kernel
	.section	.text._ZN12_GLOBAL__N_141elementwise_kernel_with_index_grid_strideIiZZZN2at6native17logspace_cuda_outERKN3c106ScalarES6_ldRNS1_6TensorEENKUlvE_clEvENKUlvE_clEvEUllE_EEvT_T0_PN15function_traitsISD_E11result_typeE,"axG",@progbits,_ZN12_GLOBAL__N_141elementwise_kernel_with_index_grid_strideIiZZZN2at6native17logspace_cuda_outERKN3c106ScalarES6_ldRNS1_6TensorEENKUlvE_clEvENKUlvE_clEvEUllE_EEvT_T0_PN15function_traitsISD_E11result_typeE,comdat
.Lfunc_end22:
	.size	_ZN12_GLOBAL__N_141elementwise_kernel_with_index_grid_strideIiZZZN2at6native17logspace_cuda_outERKN3c106ScalarES6_ldRNS1_6TensorEENKUlvE_clEvENKUlvE_clEvEUllE_EEvT_T0_PN15function_traitsISD_E11result_typeE, .Lfunc_end22-_ZN12_GLOBAL__N_141elementwise_kernel_with_index_grid_strideIiZZZN2at6native17logspace_cuda_outERKN3c106ScalarES6_ldRNS1_6TensorEENKUlvE_clEvENKUlvE_clEvEUllE_EEvT_T0_PN15function_traitsISD_E11result_typeE
                                        ; -- End function
	.set _ZN12_GLOBAL__N_141elementwise_kernel_with_index_grid_strideIiZZZN2at6native17logspace_cuda_outERKN3c106ScalarES6_ldRNS1_6TensorEENKUlvE_clEvENKUlvE_clEvEUllE_EEvT_T0_PN15function_traitsISD_E11result_typeE.num_vgpr, 28
	.set _ZN12_GLOBAL__N_141elementwise_kernel_with_index_grid_strideIiZZZN2at6native17logspace_cuda_outERKN3c106ScalarES6_ldRNS1_6TensorEENKUlvE_clEvENKUlvE_clEvEUllE_EEvT_T0_PN15function_traitsISD_E11result_typeE.num_agpr, 0
	.set _ZN12_GLOBAL__N_141elementwise_kernel_with_index_grid_strideIiZZZN2at6native17logspace_cuda_outERKN3c106ScalarES6_ldRNS1_6TensorEENKUlvE_clEvENKUlvE_clEvEUllE_EEvT_T0_PN15function_traitsISD_E11result_typeE.numbered_sgpr, 26
	.set _ZN12_GLOBAL__N_141elementwise_kernel_with_index_grid_strideIiZZZN2at6native17logspace_cuda_outERKN3c106ScalarES6_ldRNS1_6TensorEENKUlvE_clEvENKUlvE_clEvEUllE_EEvT_T0_PN15function_traitsISD_E11result_typeE.num_named_barrier, 0
	.set _ZN12_GLOBAL__N_141elementwise_kernel_with_index_grid_strideIiZZZN2at6native17logspace_cuda_outERKN3c106ScalarES6_ldRNS1_6TensorEENKUlvE_clEvENKUlvE_clEvEUllE_EEvT_T0_PN15function_traitsISD_E11result_typeE.private_seg_size, 0
	.set _ZN12_GLOBAL__N_141elementwise_kernel_with_index_grid_strideIiZZZN2at6native17logspace_cuda_outERKN3c106ScalarES6_ldRNS1_6TensorEENKUlvE_clEvENKUlvE_clEvEUllE_EEvT_T0_PN15function_traitsISD_E11result_typeE.uses_vcc, 1
	.set _ZN12_GLOBAL__N_141elementwise_kernel_with_index_grid_strideIiZZZN2at6native17logspace_cuda_outERKN3c106ScalarES6_ldRNS1_6TensorEENKUlvE_clEvENKUlvE_clEvEUllE_EEvT_T0_PN15function_traitsISD_E11result_typeE.uses_flat_scratch, 0
	.set _ZN12_GLOBAL__N_141elementwise_kernel_with_index_grid_strideIiZZZN2at6native17logspace_cuda_outERKN3c106ScalarES6_ldRNS1_6TensorEENKUlvE_clEvENKUlvE_clEvEUllE_EEvT_T0_PN15function_traitsISD_E11result_typeE.has_dyn_sized_stack, 0
	.set _ZN12_GLOBAL__N_141elementwise_kernel_with_index_grid_strideIiZZZN2at6native17logspace_cuda_outERKN3c106ScalarES6_ldRNS1_6TensorEENKUlvE_clEvENKUlvE_clEvEUllE_EEvT_T0_PN15function_traitsISD_E11result_typeE.has_recursion, 0
	.set _ZN12_GLOBAL__N_141elementwise_kernel_with_index_grid_strideIiZZZN2at6native17logspace_cuda_outERKN3c106ScalarES6_ldRNS1_6TensorEENKUlvE_clEvENKUlvE_clEvEUllE_EEvT_T0_PN15function_traitsISD_E11result_typeE.has_indirect_call, 0
	.section	.AMDGPU.csdata,"",@progbits
; Kernel info:
; codeLenInByte = 1404
; TotalNumSgprs: 32
; NumVgprs: 28
; NumAgprs: 0
; TotalNumVgprs: 28
; ScratchSize: 0
; MemoryBound: 0
; FloatMode: 240
; IeeeMode: 1
; LDSByteSize: 0 bytes/workgroup (compile time only)
; SGPRBlocks: 3
; VGPRBlocks: 3
; NumSGPRsForWavesPerEU: 32
; NumVGPRsForWavesPerEU: 28
; AccumOffset: 28
; Occupancy: 8
; WaveLimiterHint : 0
; COMPUTE_PGM_RSRC2:SCRATCH_EN: 0
; COMPUTE_PGM_RSRC2:USER_SGPR: 2
; COMPUTE_PGM_RSRC2:TRAP_HANDLER: 0
; COMPUTE_PGM_RSRC2:TGID_X_EN: 1
; COMPUTE_PGM_RSRC2:TGID_Y_EN: 0
; COMPUTE_PGM_RSRC2:TGID_Z_EN: 0
; COMPUTE_PGM_RSRC2:TIDIG_COMP_CNT: 0
; COMPUTE_PGM_RSRC3_GFX90A:ACCUM_OFFSET: 6
; COMPUTE_PGM_RSRC3_GFX90A:TG_SPLIT: 0
	.section	.text._ZN12_GLOBAL__N_141elementwise_kernel_with_index_grid_strideIlZZZN2at6native17logspace_cuda_outERKN3c106ScalarES6_ldRNS1_6TensorEENKUlvE_clEvENKUlvE_clEvEUllE_EEvT_T0_PN15function_traitsISD_E11result_typeE,"axG",@progbits,_ZN12_GLOBAL__N_141elementwise_kernel_with_index_grid_strideIlZZZN2at6native17logspace_cuda_outERKN3c106ScalarES6_ldRNS1_6TensorEENKUlvE_clEvENKUlvE_clEvEUllE_EEvT_T0_PN15function_traitsISD_E11result_typeE,comdat
	.globl	_ZN12_GLOBAL__N_141elementwise_kernel_with_index_grid_strideIlZZZN2at6native17logspace_cuda_outERKN3c106ScalarES6_ldRNS1_6TensorEENKUlvE_clEvENKUlvE_clEvEUllE_EEvT_T0_PN15function_traitsISD_E11result_typeE ; -- Begin function _ZN12_GLOBAL__N_141elementwise_kernel_with_index_grid_strideIlZZZN2at6native17logspace_cuda_outERKN3c106ScalarES6_ldRNS1_6TensorEENKUlvE_clEvENKUlvE_clEvEUllE_EEvT_T0_PN15function_traitsISD_E11result_typeE
	.p2align	8
	.type	_ZN12_GLOBAL__N_141elementwise_kernel_with_index_grid_strideIlZZZN2at6native17logspace_cuda_outERKN3c106ScalarES6_ldRNS1_6TensorEENKUlvE_clEvENKUlvE_clEvEUllE_EEvT_T0_PN15function_traitsISD_E11result_typeE,@function
_ZN12_GLOBAL__N_141elementwise_kernel_with_index_grid_strideIlZZZN2at6native17logspace_cuda_outERKN3c106ScalarES6_ldRNS1_6TensorEENKUlvE_clEvENKUlvE_clEvEUllE_EEvT_T0_PN15function_traitsISD_E11result_typeE: ; @_ZN12_GLOBAL__N_141elementwise_kernel_with_index_grid_strideIlZZZN2at6native17logspace_cuda_outERKN3c106ScalarES6_ldRNS1_6TensorEENKUlvE_clEvENKUlvE_clEvEUllE_EEvT_T0_PN15function_traitsISD_E11result_typeE
; %bb.0:
	s_load_dword s3, s[0:1], 0x3c
	s_load_dwordx2 s[8:9], s[0:1], 0x0
	s_add_u32 s10, s0, 48
	s_addc_u32 s11, s1, 0
	v_mov_b32_e32 v1, 0
	s_waitcnt lgkmcnt(0)
	s_and_b32 s3, s3, 0xffff
	v_mov_b32_e32 v2, s2
	v_mad_u64_u32 v[0:1], s[4:5], s3, v2, v[0:1]
	v_cmp_gt_i64_e32 vcc, s[8:9], v[0:1]
	s_and_saveexec_b64 s[4:5], vcc
	s_cbranch_execz .LBB23_7
; %bb.1:
	s_load_dword s2, s[10:11], 0x0
	s_load_dwordx4 s[20:23], s[0:1], 0x8
	s_load_dword s16, s[0:1], 0x18
	s_load_dwordx4 s[4:7], s[0:1], 0x20
	v_not_b32_e32 v3, v1
	s_waitcnt lgkmcnt(0)
	s_mul_hi_u32 s11, s3, s2
	v_not_b32_e32 v2, v0
                                        ; implicit-def: $vgpr8
	s_mul_i32 s10, s3, s2
	v_cvt_f32_ubyte1_e32 v4, s20
	v_cvt_f32_ubyte0_e32 v5, s20
	v_cmp_eq_f32_e64 s[12:13], s21, 1.0
	v_lshl_add_u64 v[2:3], v[2:3], 0, s[22:23]
	s_mov_b64 s[14:15], 0
	v_mov_b32_e32 v6, s21
	s_mov_b32 s17, 0x3f2aaaab
	v_mov_b32_e32 v7, 0x3e91f4c4
	s_mov_b32 s18, 0x3f317218
	s_movk_i32 s19, 0x204
	s_mov_b32 s20, 0x7f800000
	s_mov_b32 s21, 0x42b17218
	v_mov_b32_e32 v8, 0x37000000
	s_mov_b32 s22, 0x3fb8aa3b
	s_mov_b32 s23, 0xc2ce8ed0
	v_mov_b32_e32 v9, 0x7f800000
	s_brev_b32 s24, -2
	v_mov_b32_e32 v10, 0x7fc00000
	v_mov_b32_e32 v11, s11
	s_branch .LBB23_3
.LBB23_2:                               ;   in Loop: Header=BB23_3 Depth=1
	s_or_b64 exec, exec, s[0:1]
	v_cndmask_b32_e64 v26, v12, 1.0, s[12:13]
	v_cmp_neq_f32_e32 vcc, 0, v26
	v_cmp_neq_f32_e64 s[2:3], v26, |v26|
	s_nop 0
	v_cndmask_b32_e32 v27, 1.0, v6, vcc
	v_frexp_mant_f32_e64 v12, |v27|
	v_cmp_gt_f32_e32 vcc, s17, v12
	v_cmp_lt_f32_e64 s[26:27], |v27|, 1.0
	s_xor_b64 s[2:3], s[2:3], s[26:27]
	v_cndmask_b32_e64 v13, 1.0, 2.0, vcc
	v_mul_f32_e32 v12, v12, v13
	v_add_f32_e32 v15, 1.0, v12
	v_rcp_f32_e32 v20, v15
	v_add_f32_e32 v13, -1.0, v15
	v_sub_f32_e32 v17, v12, v13
	v_add_f32_e32 v13, -1.0, v12
	v_mul_f32_e32 v21, v13, v20
	v_mul_f32_e32 v14, v15, v21
	v_fma_f32 v16, v21, v15, -v14
	v_fmac_f32_e32 v16, v21, v17
	v_add_f32_e32 v12, v14, v16
	v_sub_f32_e32 v15, v13, v12
	v_pk_add_f32 v[18:19], v[12:13], v[14:15] neg_lo:[0,1] neg_hi:[0,1]
	v_mov_b32_e32 v17, v12
	v_pk_add_f32 v[12:13], v[18:19], v[16:17] neg_lo:[0,1] neg_hi:[0,1]
	v_cmp_class_f32_e64 s[26:27], v27, s19
	v_add_f32_e32 v12, v12, v13
	v_add_f32_e32 v12, v15, v12
	v_mul_f32_e32 v13, v20, v12
	v_add_f32_e32 v12, v21, v13
	v_sub_f32_e32 v14, v12, v21
	v_sub_f32_e32 v22, v13, v14
	v_mul_f32_e32 v13, v12, v12
	v_fma_f32 v15, v12, v12, -v13
	v_add_f32_e32 v14, v22, v22
	v_fmac_f32_e32 v15, v12, v14
	v_add_f32_e32 v14, v13, v15
	v_fmamk_f32 v16, v14, 0x3e76c4e1, v7
	v_fmaak_f32 v16, v14, v16, 0x3ecccdef
	v_sub_f32_e32 v13, v14, v13
	v_sub_f32_e32 v23, v15, v13
	v_mul_f32_e32 v13, v14, v16
	v_fma_f32 v15, v14, v16, -v13
	v_fmac_f32_e32 v15, v23, v16
	v_add_f32_e32 v16, v13, v15
	v_add_f32_e32 v17, 0x3f2aaaaa, v16
	v_sub_f32_e32 v13, v16, v13
	v_sub_f32_e32 v13, v15, v13
	v_add_f32_e32 v15, 0xbf2aaaaa, v17
	v_add_f32_e32 v13, 0x31739010, v13
	v_sub_f32_e32 v15, v16, v15
	v_pk_mul_f32 v[18:19], v[12:13], v[14:15]
	v_pk_add_f32 v[20:21], v[12:13], v[14:15]
	v_fma_f32 v16, v14, v12, -v18
	v_fmac_f32_e32 v16, v14, v22
	v_mov_b32_e32 v19, v21
	v_fmac_f32_e32 v16, v23, v12
	v_pk_add_f32 v[14:15], v[18:19], v[16:17]
	v_ldexp_f32 v24, v22, 1
	v_sub_f32_e32 v13, v14, v18
	v_sub_f32_e32 v13, v16, v13
	;; [unrolled: 1-line block ×3, first 2 shown]
	v_add_f32_e32 v20, v21, v16
	v_pk_mul_f32 v[16:17], v[14:15], v[14:15] op_sel:[0,1] op_sel_hi:[1,0]
	v_cvt_f64_f32_e64 v[18:19], |v27|
	v_frexp_exp_i32_f64_e32 v17, v[18:19]
	v_subbrev_co_u32_e32 v17, vcc, 0, v17, vcc
	v_cvt_f32_i32_e32 v17, v17
	v_fma_f32 v18, v14, v15, -v16
	v_fmac_f32_e32 v18, v14, v20
	v_fmac_f32_e32 v18, v13, v15
	v_mul_f32_e32 v14, 0x3f317218, v17
	v_fma_f32 v20, v17, s18, -v14
	v_fmac_f32_e32 v20, 0xb102e308, v17
	v_ldexp_f32 v21, v12, 1
	v_add_f32_e32 v15, v16, v18
	v_pk_add_f32 v[12:13], v[14:15], v[20:21]
	v_mov_b32_e32 v22, v15
	v_mov_b32_e32 v23, v13
	;; [unrolled: 1-line block ×3, first 2 shown]
	v_pk_add_f32 v[16:17], v[22:23], v[16:17] neg_lo:[0,1] neg_hi:[0,1]
	v_mov_b32_e32 v19, v15
	v_pk_add_f32 v[16:17], v[18:19], v[16:17] neg_lo:[0,1] neg_hi:[0,1]
	v_mov_b32_e32 v21, v12
	v_add_f32_e32 v15, v24, v16
	v_add_f32_e32 v15, v15, v17
	v_pk_add_f32 v[16:17], v[12:13], v[14:15] neg_lo:[0,1] neg_hi:[0,1]
	v_pk_add_f32 v[18:19], v[12:13], v[14:15]
	v_mov_b32_e32 v14, v15
	v_mov_b32_e32 v17, v19
	v_pk_add_f32 v[22:23], v[20:21], v[16:17] neg_lo:[0,1] neg_hi:[0,1]
	v_pk_add_f32 v[16:17], v[20:21], v[16:17]
	v_mov_b32_e32 v15, v12
	v_pk_add_f32 v[20:21], v[16:17], v[12:13] op_sel:[1,0] op_sel_hi:[0,1] neg_lo:[0,1] neg_hi:[0,1]
	v_pk_add_f32 v[24:25], v[18:19], v[20:21] op_sel_hi:[1,0] neg_lo:[0,1] neg_hi:[0,1]
	v_mov_b32_e32 v18, v19
	v_mov_b32_e32 v19, v17
	v_pk_mov_b32 v[20:21], v[12:13], v[20:21] op_sel:[1,0]
	v_mov_b32_e32 v24, v22
	v_pk_add_f32 v[18:19], v[18:19], v[20:21] neg_lo:[0,1] neg_hi:[0,1]
	v_mov_b32_e32 v23, v17
	v_pk_add_f32 v[12:13], v[14:15], v[18:19] neg_lo:[0,1] neg_hi:[0,1]
	s_nop 0
	v_pk_add_f32 v[14:15], v[24:25], v[12:13]
	s_nop 0
	v_pk_add_f32 v[18:19], v[14:15], v[14:15] op_sel:[0,1] op_sel_hi:[1,0]
	s_nop 0
	v_pk_add_f32 v[16:17], v[16:17], v[18:19] op_sel:[1,0] op_sel_hi:[0,1]
	v_mov_b32_e32 v15, v16
	v_pk_add_f32 v[20:21], v[14:15], v[22:23] neg_lo:[0,1] neg_hi:[0,1]
	v_mov_b32_e32 v13, v18
	v_sub_f32_e32 v14, v14, v20
	v_pk_add_f32 v[12:13], v[12:13], v[20:21] neg_lo:[0,1] neg_hi:[0,1]
	v_sub_f32_e32 v14, v22, v14
	v_add_f32_e32 v12, v12, v14
	v_add_f32_e32 v12, v12, v13
	;; [unrolled: 1-line block ×3, first 2 shown]
	v_sub_f32_e32 v14, v13, v16
	v_sub_f32_e32 v12, v12, v14
	v_mul_f32_e32 v14, v26, v13
	v_fma_f32 v13, v26, v13, -v14
	v_fmac_f32_e32 v13, v26, v12
	v_add_f32_e32 v12, v14, v13
	v_cmp_class_f32_e64 vcc, v14, s19
	v_sub_f32_e32 v15, v12, v14
	v_sub_f32_e32 v13, v13, v15
	v_cndmask_b32_e32 v12, v12, v14, vcc
	v_cmp_eq_f32_e32 vcc, s21, v12
	s_nop 1
	v_cndmask_b32_e32 v14, 0, v8, vcc
	v_sub_f32_e32 v15, v12, v14
	v_mul_f32_e32 v16, 0x3fb8aa3b, v15
	v_fma_f32 v17, v15, s22, -v16
	v_rndne_f32_e32 v18, v16
	v_fmac_f32_e32 v17, 0x32a5705f, v15
	v_sub_f32_e32 v16, v16, v18
	v_add_f32_e32 v16, v16, v17
	v_exp_f32_e32 v16, v16
	v_cvt_i32_f32_e32 v17, v18
	v_cmp_neq_f32_e64 vcc, |v12|, s20
	s_nop 1
	v_cndmask_b32_e32 v12, 0, v13, vcc
	v_ldexp_f32 v13, v16, v17
	v_cmp_ngt_f32_e32 vcc, s23, v15
	v_add_f32_e32 v12, v14, v12
	s_nop 0
	v_cndmask_b32_e32 v13, 0, v13, vcc
	v_cmp_nlt_f32_e32 vcc, s21, v15
	s_nop 1
	v_cndmask_b32_e32 v13, v9, v13, vcc
	v_fma_f32 v12, v13, v12, v13
	v_cmp_class_f32_e64 vcc, v13, s19
	s_nop 1
	v_cndmask_b32_e32 v12, v12, v13, vcc
	v_trunc_f32_e32 v13, v26
	v_cmp_eq_f32_e32 vcc, v13, v26
	v_mul_f32_e32 v13, 0.5, v26
	v_trunc_f32_e32 v14, v13
	v_cmp_neq_f32_e64 s[0:1], v14, v13
	s_and_b64 s[0:1], vcc, s[0:1]
	s_nop 0
	v_cndmask_b32_e64 v13, 1.0, v27, s[0:1]
	v_bfi_b32 v12, s24, v12, v13
	v_cndmask_b32_e32 v13, v10, v12, vcc
	v_cmp_gt_f32_e32 vcc, 0, v27
	v_cndmask_b32_e64 v14, 0, v27, s[0:1]
	s_nop 0
	v_cndmask_b32_e32 v12, v12, v13, vcc
	v_cndmask_b32_e64 v13, v9, 0, s[2:3]
	v_cmp_neq_f32_e64 vcc, |v27|, 1.0
	v_cmp_gt_f32_e64 s[2:3], 0, v26
	s_nop 0
	v_cndmask_b32_e32 v13, 1.0, v13, vcc
	v_cmp_class_f32_e64 vcc, v26, s19
	s_nop 1
	v_cndmask_b32_e32 v12, v12, v13, vcc
	v_cmp_eq_f32_e32 vcc, 0, v27
	s_xor_b64 s[2:3], s[2:3], vcc
	v_cndmask_b32_e64 v13, v9, 0, s[2:3]
	v_bfi_b32 v13, s24, v13, v14
	s_or_b64 vcc, vcc, s[26:27]
	v_cndmask_b32_e32 v12, v12, v13, vcc
	v_cmp_o_f32_e32 vcc, v27, v26
	s_nop 1
	v_cndmask_b32_e32 v12, v10, v12, vcc
	v_cvt_i32_f32_e32 v14, v12
	v_lshl_add_u64 v[12:13], s[6:7], 0, v[0:1]
	v_lshl_add_u64 v[0:1], v[0:1], 0, s[10:11]
	v_cmp_le_i64_e32 vcc, s[8:9], v[0:1]
	s_or_b64 s[14:15], vcc, s[14:15]
	v_subrev_co_u32_e32 v2, vcc, s10, v2
	global_store_byte v[12:13], v14, off
	s_nop 0
	v_subb_co_u32_e32 v3, vcc, v3, v11, vcc
	s_andn2_b64 exec, exec, s[14:15]
	s_cbranch_execz .LBB23_7
.LBB23_3:                               ; =>This Inner Loop Header: Depth=1
	v_cmp_le_i64_e32 vcc, s[4:5], v[0:1]
                                        ; implicit-def: $vgpr12
	s_and_saveexec_b64 s[0:1], vcc
	s_xor_b64 s[0:1], exec, s[0:1]
	s_cbranch_execz .LBB23_5
; %bb.4:                                ;   in Loop: Header=BB23_3 Depth=1
	v_xor_b32_e32 v13, v2, v3
	v_ffbh_i32_e32 v12, v3
	v_ashrrev_i32_e32 v13, 31, v13
	v_add_u32_e32 v12, -1, v12
	v_add_u32_e32 v13, 32, v13
	v_min_u32_e32 v14, v12, v13
	v_lshlrev_b64 v[12:13], v14, v[2:3]
	v_min_u32_e32 v12, 1, v12
	v_or_b32_e32 v12, v13, v12
	v_cvt_f32_i32_e32 v12, v12
	v_sub_u32_e32 v13, 32, v14
	v_ldexp_f32 v12, v12, v13
	v_fma_f32 v12, -s16, v12, v4
.LBB23_5:                               ;   in Loop: Header=BB23_3 Depth=1
	s_andn2_saveexec_b64 s[0:1], s[0:1]
	s_cbranch_execz .LBB23_2
; %bb.6:                                ;   in Loop: Header=BB23_3 Depth=1
	v_ffbh_u32_e32 v12, v1
	v_min_u32_e32 v14, 32, v12
	v_lshlrev_b64 v[12:13], v14, v[0:1]
	v_min_u32_e32 v12, 1, v12
	v_or_b32_e32 v12, v13, v12
	v_cvt_f32_u32_e32 v12, v12
	v_sub_u32_e32 v13, 32, v14
	v_ldexp_f32 v12, v12, v13
	v_fma_f32 v12, s16, v12, v5
	s_branch .LBB23_2
.LBB23_7:
	s_endpgm
	.section	.rodata,"a",@progbits
	.p2align	6, 0x0
	.amdhsa_kernel _ZN12_GLOBAL__N_141elementwise_kernel_with_index_grid_strideIlZZZN2at6native17logspace_cuda_outERKN3c106ScalarES6_ldRNS1_6TensorEENKUlvE_clEvENKUlvE_clEvEUllE_EEvT_T0_PN15function_traitsISD_E11result_typeE
		.amdhsa_group_segment_fixed_size 0
		.amdhsa_private_segment_fixed_size 0
		.amdhsa_kernarg_size 304
		.amdhsa_user_sgpr_count 2
		.amdhsa_user_sgpr_dispatch_ptr 0
		.amdhsa_user_sgpr_queue_ptr 0
		.amdhsa_user_sgpr_kernarg_segment_ptr 1
		.amdhsa_user_sgpr_dispatch_id 0
		.amdhsa_user_sgpr_kernarg_preload_length 0
		.amdhsa_user_sgpr_kernarg_preload_offset 0
		.amdhsa_user_sgpr_private_segment_size 0
		.amdhsa_uses_dynamic_stack 0
		.amdhsa_enable_private_segment 0
		.amdhsa_system_sgpr_workgroup_id_x 1
		.amdhsa_system_sgpr_workgroup_id_y 0
		.amdhsa_system_sgpr_workgroup_id_z 0
		.amdhsa_system_sgpr_workgroup_info 0
		.amdhsa_system_vgpr_workitem_id 0
		.amdhsa_next_free_vgpr 28
		.amdhsa_next_free_sgpr 28
		.amdhsa_accum_offset 28
		.amdhsa_reserve_vcc 1
		.amdhsa_float_round_mode_32 0
		.amdhsa_float_round_mode_16_64 0
		.amdhsa_float_denorm_mode_32 3
		.amdhsa_float_denorm_mode_16_64 3
		.amdhsa_dx10_clamp 1
		.amdhsa_ieee_mode 1
		.amdhsa_fp16_overflow 0
		.amdhsa_tg_split 0
		.amdhsa_exception_fp_ieee_invalid_op 0
		.amdhsa_exception_fp_denorm_src 0
		.amdhsa_exception_fp_ieee_div_zero 0
		.amdhsa_exception_fp_ieee_overflow 0
		.amdhsa_exception_fp_ieee_underflow 0
		.amdhsa_exception_fp_ieee_inexact 0
		.amdhsa_exception_int_div_zero 0
	.end_amdhsa_kernel
	.section	.text._ZN12_GLOBAL__N_141elementwise_kernel_with_index_grid_strideIlZZZN2at6native17logspace_cuda_outERKN3c106ScalarES6_ldRNS1_6TensorEENKUlvE_clEvENKUlvE_clEvEUllE_EEvT_T0_PN15function_traitsISD_E11result_typeE,"axG",@progbits,_ZN12_GLOBAL__N_141elementwise_kernel_with_index_grid_strideIlZZZN2at6native17logspace_cuda_outERKN3c106ScalarES6_ldRNS1_6TensorEENKUlvE_clEvENKUlvE_clEvEUllE_EEvT_T0_PN15function_traitsISD_E11result_typeE,comdat
.Lfunc_end23:
	.size	_ZN12_GLOBAL__N_141elementwise_kernel_with_index_grid_strideIlZZZN2at6native17logspace_cuda_outERKN3c106ScalarES6_ldRNS1_6TensorEENKUlvE_clEvENKUlvE_clEvEUllE_EEvT_T0_PN15function_traitsISD_E11result_typeE, .Lfunc_end23-_ZN12_GLOBAL__N_141elementwise_kernel_with_index_grid_strideIlZZZN2at6native17logspace_cuda_outERKN3c106ScalarES6_ldRNS1_6TensorEENKUlvE_clEvENKUlvE_clEvEUllE_EEvT_T0_PN15function_traitsISD_E11result_typeE
                                        ; -- End function
	.set _ZN12_GLOBAL__N_141elementwise_kernel_with_index_grid_strideIlZZZN2at6native17logspace_cuda_outERKN3c106ScalarES6_ldRNS1_6TensorEENKUlvE_clEvENKUlvE_clEvEUllE_EEvT_T0_PN15function_traitsISD_E11result_typeE.num_vgpr, 28
	.set _ZN12_GLOBAL__N_141elementwise_kernel_with_index_grid_strideIlZZZN2at6native17logspace_cuda_outERKN3c106ScalarES6_ldRNS1_6TensorEENKUlvE_clEvENKUlvE_clEvEUllE_EEvT_T0_PN15function_traitsISD_E11result_typeE.num_agpr, 0
	.set _ZN12_GLOBAL__N_141elementwise_kernel_with_index_grid_strideIlZZZN2at6native17logspace_cuda_outERKN3c106ScalarES6_ldRNS1_6TensorEENKUlvE_clEvENKUlvE_clEvEUllE_EEvT_T0_PN15function_traitsISD_E11result_typeE.numbered_sgpr, 28
	.set _ZN12_GLOBAL__N_141elementwise_kernel_with_index_grid_strideIlZZZN2at6native17logspace_cuda_outERKN3c106ScalarES6_ldRNS1_6TensorEENKUlvE_clEvENKUlvE_clEvEUllE_EEvT_T0_PN15function_traitsISD_E11result_typeE.num_named_barrier, 0
	.set _ZN12_GLOBAL__N_141elementwise_kernel_with_index_grid_strideIlZZZN2at6native17logspace_cuda_outERKN3c106ScalarES6_ldRNS1_6TensorEENKUlvE_clEvENKUlvE_clEvEUllE_EEvT_T0_PN15function_traitsISD_E11result_typeE.private_seg_size, 0
	.set _ZN12_GLOBAL__N_141elementwise_kernel_with_index_grid_strideIlZZZN2at6native17logspace_cuda_outERKN3c106ScalarES6_ldRNS1_6TensorEENKUlvE_clEvENKUlvE_clEvEUllE_EEvT_T0_PN15function_traitsISD_E11result_typeE.uses_vcc, 1
	.set _ZN12_GLOBAL__N_141elementwise_kernel_with_index_grid_strideIlZZZN2at6native17logspace_cuda_outERKN3c106ScalarES6_ldRNS1_6TensorEENKUlvE_clEvENKUlvE_clEvEUllE_EEvT_T0_PN15function_traitsISD_E11result_typeE.uses_flat_scratch, 0
	.set _ZN12_GLOBAL__N_141elementwise_kernel_with_index_grid_strideIlZZZN2at6native17logspace_cuda_outERKN3c106ScalarES6_ldRNS1_6TensorEENKUlvE_clEvENKUlvE_clEvEUllE_EEvT_T0_PN15function_traitsISD_E11result_typeE.has_dyn_sized_stack, 0
	.set _ZN12_GLOBAL__N_141elementwise_kernel_with_index_grid_strideIlZZZN2at6native17logspace_cuda_outERKN3c106ScalarES6_ldRNS1_6TensorEENKUlvE_clEvENKUlvE_clEvEUllE_EEvT_T0_PN15function_traitsISD_E11result_typeE.has_recursion, 0
	.set _ZN12_GLOBAL__N_141elementwise_kernel_with_index_grid_strideIlZZZN2at6native17logspace_cuda_outERKN3c106ScalarES6_ldRNS1_6TensorEENKUlvE_clEvENKUlvE_clEvEUllE_EEvT_T0_PN15function_traitsISD_E11result_typeE.has_indirect_call, 0
	.section	.AMDGPU.csdata,"",@progbits
; Kernel info:
; codeLenInByte = 1444
; TotalNumSgprs: 34
; NumVgprs: 28
; NumAgprs: 0
; TotalNumVgprs: 28
; ScratchSize: 0
; MemoryBound: 0
; FloatMode: 240
; IeeeMode: 1
; LDSByteSize: 0 bytes/workgroup (compile time only)
; SGPRBlocks: 4
; VGPRBlocks: 3
; NumSGPRsForWavesPerEU: 34
; NumVGPRsForWavesPerEU: 28
; AccumOffset: 28
; Occupancy: 8
; WaveLimiterHint : 0
; COMPUTE_PGM_RSRC2:SCRATCH_EN: 0
; COMPUTE_PGM_RSRC2:USER_SGPR: 2
; COMPUTE_PGM_RSRC2:TRAP_HANDLER: 0
; COMPUTE_PGM_RSRC2:TGID_X_EN: 1
; COMPUTE_PGM_RSRC2:TGID_Y_EN: 0
; COMPUTE_PGM_RSRC2:TGID_Z_EN: 0
; COMPUTE_PGM_RSRC2:TIDIG_COMP_CNT: 0
; COMPUTE_PGM_RSRC3_GFX90A:ACCUM_OFFSET: 6
; COMPUTE_PGM_RSRC3_GFX90A:TG_SPLIT: 0
	.section	.text._ZN12_GLOBAL__N_141elementwise_kernel_with_index_grid_strideIiZZZN2at6native17logspace_cuda_outERKN3c106ScalarES6_ldRNS1_6TensorEENKUlvE_clEvENKUlvE0_clEvEUllE_EEvT_T0_PN15function_traitsISD_E11result_typeE,"axG",@progbits,_ZN12_GLOBAL__N_141elementwise_kernel_with_index_grid_strideIiZZZN2at6native17logspace_cuda_outERKN3c106ScalarES6_ldRNS1_6TensorEENKUlvE_clEvENKUlvE0_clEvEUllE_EEvT_T0_PN15function_traitsISD_E11result_typeE,comdat
	.globl	_ZN12_GLOBAL__N_141elementwise_kernel_with_index_grid_strideIiZZZN2at6native17logspace_cuda_outERKN3c106ScalarES6_ldRNS1_6TensorEENKUlvE_clEvENKUlvE0_clEvEUllE_EEvT_T0_PN15function_traitsISD_E11result_typeE ; -- Begin function _ZN12_GLOBAL__N_141elementwise_kernel_with_index_grid_strideIiZZZN2at6native17logspace_cuda_outERKN3c106ScalarES6_ldRNS1_6TensorEENKUlvE_clEvENKUlvE0_clEvEUllE_EEvT_T0_PN15function_traitsISD_E11result_typeE
	.p2align	8
	.type	_ZN12_GLOBAL__N_141elementwise_kernel_with_index_grid_strideIiZZZN2at6native17logspace_cuda_outERKN3c106ScalarES6_ldRNS1_6TensorEENKUlvE_clEvENKUlvE0_clEvEUllE_EEvT_T0_PN15function_traitsISD_E11result_typeE,@function
_ZN12_GLOBAL__N_141elementwise_kernel_with_index_grid_strideIiZZZN2at6native17logspace_cuda_outERKN3c106ScalarES6_ldRNS1_6TensorEENKUlvE_clEvENKUlvE0_clEvEUllE_EEvT_T0_PN15function_traitsISD_E11result_typeE: ; @_ZN12_GLOBAL__N_141elementwise_kernel_with_index_grid_strideIiZZZN2at6native17logspace_cuda_outERKN3c106ScalarES6_ldRNS1_6TensorEENKUlvE_clEvENKUlvE0_clEvEUllE_EEvT_T0_PN15function_traitsISD_E11result_typeE
; %bb.0:
	s_load_dword s3, s[0:1], 0x3c
	s_load_dword s14, s[0:1], 0x0
	s_add_u32 s8, s0, 48
	s_addc_u32 s9, s1, 0
	s_waitcnt lgkmcnt(0)
	s_and_b32 s3, s3, 0xffff
	s_mul_i32 s2, s2, s3
	v_add_u32_e32 v0, s2, v0
	v_cmp_gt_i32_e32 vcc, s14, v0
	s_and_saveexec_b64 s[4:5], vcc
	s_cbranch_execz .LBB24_7
; %bb.1:
	s_load_dword s2, s[8:9], 0x0
	s_load_dwordx4 s[16:19], s[0:1], 0x8
	s_load_dword s15, s[0:1], 0x18
	s_load_dwordx4 s[4:7], s[0:1], 0x20
	v_ashrrev_i32_e32 v1, 31, v0
	s_waitcnt lgkmcnt(0)
	s_mul_i32 s8, s2, s3
	s_and_b32 s0, s16, 0xffff
	s_sext_i32_i16 s0, s0
	s_bfe_i32 s1, s16, 0x80000
	s_ashr_i32 s0, s0, 8
	v_cvt_f32_i32_e32 v4, s0
	s_sext_i32_i16 s0, s1
	v_cvt_f32_i32_e32 v5, s0
	v_not_b32_e32 v3, v1
	v_not_b32_e32 v2, v0
	s_ashr_i32 s9, s8, 31
                                        ; implicit-def: $vgpr8
	v_cmp_eq_f32_e64 s[10:11], s17, 1.0
	v_lshl_add_u64 v[2:3], v[2:3], 0, s[18:19]
	s_mov_b64 s[12:13], 0
	v_mov_b32_e32 v6, s17
	s_mov_b32 s16, 0x3f2aaaab
	v_mov_b32_e32 v7, 0x3e91f4c4
	s_mov_b32 s17, 0x3f317218
	s_movk_i32 s18, 0x204
	s_mov_b32 s19, 0x7f800000
	s_mov_b32 s20, 0x42b17218
	v_mov_b32_e32 v8, 0x37000000
	s_mov_b32 s21, 0x3fb8aa3b
	s_mov_b32 s22, 0xc2ce8ed0
	v_mov_b32_e32 v9, 0x7f800000
	s_brev_b32 s23, -2
	v_mov_b32_e32 v10, 0x7fc00000
	v_mov_b32_e32 v11, s9
	s_branch .LBB24_3
.LBB24_2:                               ;   in Loop: Header=BB24_3 Depth=1
	s_or_b64 exec, exec, s[0:1]
	v_cndmask_b32_e64 v26, v12, 1.0, s[10:11]
	v_cmp_neq_f32_e32 vcc, 0, v26
	v_cmp_neq_f32_e64 s[2:3], v26, |v26|
	s_nop 0
	v_cndmask_b32_e32 v27, 1.0, v6, vcc
	v_frexp_mant_f32_e64 v12, |v27|
	v_cmp_gt_f32_e32 vcc, s16, v12
	v_cmp_lt_f32_e64 s[24:25], |v27|, 1.0
	s_xor_b64 s[2:3], s[2:3], s[24:25]
	v_cndmask_b32_e64 v13, 1.0, 2.0, vcc
	v_mul_f32_e32 v12, v12, v13
	v_add_f32_e32 v15, 1.0, v12
	v_rcp_f32_e32 v20, v15
	v_add_f32_e32 v13, -1.0, v15
	v_sub_f32_e32 v17, v12, v13
	v_add_f32_e32 v13, -1.0, v12
	v_mul_f32_e32 v21, v13, v20
	v_mul_f32_e32 v14, v15, v21
	v_fma_f32 v16, v21, v15, -v14
	v_fmac_f32_e32 v16, v21, v17
	v_add_f32_e32 v12, v14, v16
	v_sub_f32_e32 v15, v13, v12
	v_pk_add_f32 v[18:19], v[12:13], v[14:15] neg_lo:[0,1] neg_hi:[0,1]
	v_mov_b32_e32 v17, v12
	v_pk_add_f32 v[12:13], v[18:19], v[16:17] neg_lo:[0,1] neg_hi:[0,1]
	v_cmp_class_f32_e64 s[24:25], v27, s18
	v_add_f32_e32 v12, v12, v13
	v_add_f32_e32 v12, v15, v12
	v_mul_f32_e32 v13, v20, v12
	v_add_f32_e32 v12, v21, v13
	v_sub_f32_e32 v14, v12, v21
	v_sub_f32_e32 v22, v13, v14
	v_mul_f32_e32 v13, v12, v12
	v_fma_f32 v15, v12, v12, -v13
	v_add_f32_e32 v14, v22, v22
	v_fmac_f32_e32 v15, v12, v14
	v_add_f32_e32 v14, v13, v15
	v_fmamk_f32 v16, v14, 0x3e76c4e1, v7
	v_fmaak_f32 v16, v14, v16, 0x3ecccdef
	v_sub_f32_e32 v13, v14, v13
	v_sub_f32_e32 v23, v15, v13
	v_mul_f32_e32 v13, v14, v16
	v_fma_f32 v15, v14, v16, -v13
	v_fmac_f32_e32 v15, v23, v16
	v_add_f32_e32 v16, v13, v15
	v_add_f32_e32 v17, 0x3f2aaaaa, v16
	v_sub_f32_e32 v13, v16, v13
	v_sub_f32_e32 v13, v15, v13
	v_add_f32_e32 v15, 0xbf2aaaaa, v17
	v_add_f32_e32 v13, 0x31739010, v13
	v_sub_f32_e32 v15, v16, v15
	v_pk_mul_f32 v[18:19], v[12:13], v[14:15]
	v_pk_add_f32 v[20:21], v[12:13], v[14:15]
	v_fma_f32 v16, v14, v12, -v18
	v_fmac_f32_e32 v16, v14, v22
	v_mov_b32_e32 v19, v21
	v_fmac_f32_e32 v16, v23, v12
	v_pk_add_f32 v[14:15], v[18:19], v[16:17]
	v_ldexp_f32 v24, v22, 1
	v_sub_f32_e32 v13, v14, v18
	v_sub_f32_e32 v13, v16, v13
	;; [unrolled: 1-line block ×3, first 2 shown]
	v_add_f32_e32 v20, v21, v16
	v_pk_mul_f32 v[16:17], v[14:15], v[14:15] op_sel:[0,1] op_sel_hi:[1,0]
	v_cvt_f64_f32_e64 v[18:19], |v27|
	v_frexp_exp_i32_f64_e32 v17, v[18:19]
	v_subbrev_co_u32_e32 v17, vcc, 0, v17, vcc
	v_cvt_f32_i32_e32 v17, v17
	v_fma_f32 v18, v14, v15, -v16
	v_fmac_f32_e32 v18, v14, v20
	v_fmac_f32_e32 v18, v13, v15
	v_mul_f32_e32 v14, 0x3f317218, v17
	v_fma_f32 v20, v17, s17, -v14
	v_fmac_f32_e32 v20, 0xb102e308, v17
	v_ldexp_f32 v21, v12, 1
	v_add_f32_e32 v15, v16, v18
	v_pk_add_f32 v[12:13], v[14:15], v[20:21]
	v_mov_b32_e32 v22, v15
	v_mov_b32_e32 v23, v13
	;; [unrolled: 1-line block ×3, first 2 shown]
	v_pk_add_f32 v[16:17], v[22:23], v[16:17] neg_lo:[0,1] neg_hi:[0,1]
	v_mov_b32_e32 v19, v15
	v_pk_add_f32 v[16:17], v[18:19], v[16:17] neg_lo:[0,1] neg_hi:[0,1]
	v_mov_b32_e32 v21, v12
	v_add_f32_e32 v15, v24, v16
	v_add_f32_e32 v15, v15, v17
	v_pk_add_f32 v[16:17], v[12:13], v[14:15] neg_lo:[0,1] neg_hi:[0,1]
	v_pk_add_f32 v[18:19], v[12:13], v[14:15]
	v_mov_b32_e32 v14, v15
	v_mov_b32_e32 v17, v19
	v_pk_add_f32 v[22:23], v[20:21], v[16:17] neg_lo:[0,1] neg_hi:[0,1]
	v_pk_add_f32 v[16:17], v[20:21], v[16:17]
	v_mov_b32_e32 v15, v12
	v_pk_add_f32 v[20:21], v[16:17], v[12:13] op_sel:[1,0] op_sel_hi:[0,1] neg_lo:[0,1] neg_hi:[0,1]
	v_pk_add_f32 v[24:25], v[18:19], v[20:21] op_sel_hi:[1,0] neg_lo:[0,1] neg_hi:[0,1]
	v_mov_b32_e32 v18, v19
	v_mov_b32_e32 v19, v17
	v_pk_mov_b32 v[20:21], v[12:13], v[20:21] op_sel:[1,0]
	v_mov_b32_e32 v24, v22
	v_pk_add_f32 v[18:19], v[18:19], v[20:21] neg_lo:[0,1] neg_hi:[0,1]
	v_mov_b32_e32 v23, v17
	v_pk_add_f32 v[12:13], v[14:15], v[18:19] neg_lo:[0,1] neg_hi:[0,1]
	s_nop 0
	v_pk_add_f32 v[14:15], v[24:25], v[12:13]
	s_nop 0
	v_pk_add_f32 v[18:19], v[14:15], v[14:15] op_sel:[0,1] op_sel_hi:[1,0]
	s_nop 0
	v_pk_add_f32 v[16:17], v[16:17], v[18:19] op_sel:[1,0] op_sel_hi:[0,1]
	v_mov_b32_e32 v15, v16
	v_pk_add_f32 v[20:21], v[14:15], v[22:23] neg_lo:[0,1] neg_hi:[0,1]
	v_mov_b32_e32 v13, v18
	v_sub_f32_e32 v14, v14, v20
	v_pk_add_f32 v[12:13], v[12:13], v[20:21] neg_lo:[0,1] neg_hi:[0,1]
	v_sub_f32_e32 v14, v22, v14
	v_add_f32_e32 v12, v12, v14
	v_add_f32_e32 v12, v12, v13
	;; [unrolled: 1-line block ×3, first 2 shown]
	v_sub_f32_e32 v14, v13, v16
	v_sub_f32_e32 v12, v12, v14
	v_mul_f32_e32 v14, v26, v13
	v_fma_f32 v13, v26, v13, -v14
	v_fmac_f32_e32 v13, v26, v12
	v_add_f32_e32 v12, v14, v13
	v_cmp_class_f32_e64 vcc, v14, s18
	v_sub_f32_e32 v15, v12, v14
	v_sub_f32_e32 v13, v13, v15
	v_cndmask_b32_e32 v12, v12, v14, vcc
	v_cmp_eq_f32_e32 vcc, s20, v12
	s_nop 1
	v_cndmask_b32_e32 v14, 0, v8, vcc
	v_sub_f32_e32 v15, v12, v14
	v_mul_f32_e32 v16, 0x3fb8aa3b, v15
	v_fma_f32 v17, v15, s21, -v16
	v_rndne_f32_e32 v18, v16
	v_fmac_f32_e32 v17, 0x32a5705f, v15
	v_sub_f32_e32 v16, v16, v18
	v_add_f32_e32 v16, v16, v17
	v_exp_f32_e32 v16, v16
	v_cvt_i32_f32_e32 v17, v18
	v_cmp_neq_f32_e64 vcc, |v12|, s19
	s_nop 1
	v_cndmask_b32_e32 v12, 0, v13, vcc
	v_ldexp_f32 v13, v16, v17
	v_cmp_ngt_f32_e32 vcc, s22, v15
	v_add_f32_e32 v12, v14, v12
	s_nop 0
	v_cndmask_b32_e32 v13, 0, v13, vcc
	v_cmp_nlt_f32_e32 vcc, s20, v15
	s_nop 1
	v_cndmask_b32_e32 v13, v9, v13, vcc
	v_fma_f32 v12, v13, v12, v13
	v_cmp_class_f32_e64 vcc, v13, s18
	s_nop 1
	v_cndmask_b32_e32 v12, v12, v13, vcc
	v_trunc_f32_e32 v13, v26
	v_cmp_eq_f32_e32 vcc, v13, v26
	v_mul_f32_e32 v13, 0.5, v26
	v_trunc_f32_e32 v14, v13
	v_cmp_neq_f32_e64 s[0:1], v14, v13
	s_and_b64 s[0:1], vcc, s[0:1]
	s_nop 0
	v_cndmask_b32_e64 v13, 1.0, v27, s[0:1]
	v_bfi_b32 v12, s23, v12, v13
	v_cndmask_b32_e32 v13, v10, v12, vcc
	v_cmp_gt_f32_e32 vcc, 0, v27
	v_cndmask_b32_e64 v14, 0, v27, s[0:1]
	s_nop 0
	v_cndmask_b32_e32 v12, v12, v13, vcc
	v_cndmask_b32_e64 v13, v9, 0, s[2:3]
	v_cmp_neq_f32_e64 vcc, |v27|, 1.0
	v_cmp_gt_f32_e64 s[2:3], 0, v26
	s_nop 0
	v_cndmask_b32_e32 v13, 1.0, v13, vcc
	v_cmp_class_f32_e64 vcc, v26, s18
	s_nop 1
	v_cndmask_b32_e32 v12, v12, v13, vcc
	v_cmp_eq_f32_e32 vcc, 0, v27
	s_xor_b64 s[2:3], s[2:3], vcc
	v_cndmask_b32_e64 v13, v9, 0, s[2:3]
	v_bfi_b32 v13, s23, v13, v14
	s_or_b64 vcc, vcc, s[24:25]
	v_cndmask_b32_e32 v12, v12, v13, vcc
	v_cmp_o_f32_e32 vcc, v27, v26
	s_nop 1
	v_cndmask_b32_e32 v12, v10, v12, vcc
	v_cvt_i32_f32_e32 v14, v12
	v_lshl_add_u64 v[12:13], s[6:7], 0, v[0:1]
	v_lshl_add_u64 v[0:1], v[0:1], 0, s[8:9]
	v_cmp_le_i32_e32 vcc, s14, v0
	s_or_b64 s[12:13], vcc, s[12:13]
	v_subrev_co_u32_e32 v2, vcc, s8, v2
	global_store_byte v[12:13], v14, off
	s_nop 0
	v_subb_co_u32_e32 v3, vcc, v3, v11, vcc
	s_andn2_b64 exec, exec, s[12:13]
	s_cbranch_execz .LBB24_7
.LBB24_3:                               ; =>This Inner Loop Header: Depth=1
	v_cmp_le_i64_e32 vcc, s[4:5], v[0:1]
                                        ; implicit-def: $vgpr12
	s_and_saveexec_b64 s[0:1], vcc
	s_xor_b64 s[0:1], exec, s[0:1]
	s_cbranch_execz .LBB24_5
; %bb.4:                                ;   in Loop: Header=BB24_3 Depth=1
	v_xor_b32_e32 v13, v2, v3
	v_ffbh_i32_e32 v12, v3
	v_ashrrev_i32_e32 v13, 31, v13
	v_add_u32_e32 v12, -1, v12
	v_add_u32_e32 v13, 32, v13
	v_min_u32_e32 v14, v12, v13
	v_lshlrev_b64 v[12:13], v14, v[2:3]
	v_min_u32_e32 v12, 1, v12
	v_or_b32_e32 v12, v13, v12
	v_cvt_f32_i32_e32 v12, v12
	v_sub_u32_e32 v13, 32, v14
	v_ldexp_f32 v12, v12, v13
	v_fma_f32 v12, -s15, v12, v4
.LBB24_5:                               ;   in Loop: Header=BB24_3 Depth=1
	s_andn2_saveexec_b64 s[0:1], s[0:1]
	s_cbranch_execz .LBB24_2
; %bb.6:                                ;   in Loop: Header=BB24_3 Depth=1
	v_cvt_f32_i32_e32 v12, v0
	v_fma_f32 v12, s15, v12, v5
	s_branch .LBB24_2
.LBB24_7:
	s_endpgm
	.section	.rodata,"a",@progbits
	.p2align	6, 0x0
	.amdhsa_kernel _ZN12_GLOBAL__N_141elementwise_kernel_with_index_grid_strideIiZZZN2at6native17logspace_cuda_outERKN3c106ScalarES6_ldRNS1_6TensorEENKUlvE_clEvENKUlvE0_clEvEUllE_EEvT_T0_PN15function_traitsISD_E11result_typeE
		.amdhsa_group_segment_fixed_size 0
		.amdhsa_private_segment_fixed_size 0
		.amdhsa_kernarg_size 304
		.amdhsa_user_sgpr_count 2
		.amdhsa_user_sgpr_dispatch_ptr 0
		.amdhsa_user_sgpr_queue_ptr 0
		.amdhsa_user_sgpr_kernarg_segment_ptr 1
		.amdhsa_user_sgpr_dispatch_id 0
		.amdhsa_user_sgpr_kernarg_preload_length 0
		.amdhsa_user_sgpr_kernarg_preload_offset 0
		.amdhsa_user_sgpr_private_segment_size 0
		.amdhsa_uses_dynamic_stack 0
		.amdhsa_enable_private_segment 0
		.amdhsa_system_sgpr_workgroup_id_x 1
		.amdhsa_system_sgpr_workgroup_id_y 0
		.amdhsa_system_sgpr_workgroup_id_z 0
		.amdhsa_system_sgpr_workgroup_info 0
		.amdhsa_system_vgpr_workitem_id 0
		.amdhsa_next_free_vgpr 28
		.amdhsa_next_free_sgpr 26
		.amdhsa_accum_offset 28
		.amdhsa_reserve_vcc 1
		.amdhsa_float_round_mode_32 0
		.amdhsa_float_round_mode_16_64 0
		.amdhsa_float_denorm_mode_32 3
		.amdhsa_float_denorm_mode_16_64 3
		.amdhsa_dx10_clamp 1
		.amdhsa_ieee_mode 1
		.amdhsa_fp16_overflow 0
		.amdhsa_tg_split 0
		.amdhsa_exception_fp_ieee_invalid_op 0
		.amdhsa_exception_fp_denorm_src 0
		.amdhsa_exception_fp_ieee_div_zero 0
		.amdhsa_exception_fp_ieee_overflow 0
		.amdhsa_exception_fp_ieee_underflow 0
		.amdhsa_exception_fp_ieee_inexact 0
		.amdhsa_exception_int_div_zero 0
	.end_amdhsa_kernel
	.section	.text._ZN12_GLOBAL__N_141elementwise_kernel_with_index_grid_strideIiZZZN2at6native17logspace_cuda_outERKN3c106ScalarES6_ldRNS1_6TensorEENKUlvE_clEvENKUlvE0_clEvEUllE_EEvT_T0_PN15function_traitsISD_E11result_typeE,"axG",@progbits,_ZN12_GLOBAL__N_141elementwise_kernel_with_index_grid_strideIiZZZN2at6native17logspace_cuda_outERKN3c106ScalarES6_ldRNS1_6TensorEENKUlvE_clEvENKUlvE0_clEvEUllE_EEvT_T0_PN15function_traitsISD_E11result_typeE,comdat
.Lfunc_end24:
	.size	_ZN12_GLOBAL__N_141elementwise_kernel_with_index_grid_strideIiZZZN2at6native17logspace_cuda_outERKN3c106ScalarES6_ldRNS1_6TensorEENKUlvE_clEvENKUlvE0_clEvEUllE_EEvT_T0_PN15function_traitsISD_E11result_typeE, .Lfunc_end24-_ZN12_GLOBAL__N_141elementwise_kernel_with_index_grid_strideIiZZZN2at6native17logspace_cuda_outERKN3c106ScalarES6_ldRNS1_6TensorEENKUlvE_clEvENKUlvE0_clEvEUllE_EEvT_T0_PN15function_traitsISD_E11result_typeE
                                        ; -- End function
	.set _ZN12_GLOBAL__N_141elementwise_kernel_with_index_grid_strideIiZZZN2at6native17logspace_cuda_outERKN3c106ScalarES6_ldRNS1_6TensorEENKUlvE_clEvENKUlvE0_clEvEUllE_EEvT_T0_PN15function_traitsISD_E11result_typeE.num_vgpr, 28
	.set _ZN12_GLOBAL__N_141elementwise_kernel_with_index_grid_strideIiZZZN2at6native17logspace_cuda_outERKN3c106ScalarES6_ldRNS1_6TensorEENKUlvE_clEvENKUlvE0_clEvEUllE_EEvT_T0_PN15function_traitsISD_E11result_typeE.num_agpr, 0
	.set _ZN12_GLOBAL__N_141elementwise_kernel_with_index_grid_strideIiZZZN2at6native17logspace_cuda_outERKN3c106ScalarES6_ldRNS1_6TensorEENKUlvE_clEvENKUlvE0_clEvEUllE_EEvT_T0_PN15function_traitsISD_E11result_typeE.numbered_sgpr, 26
	.set _ZN12_GLOBAL__N_141elementwise_kernel_with_index_grid_strideIiZZZN2at6native17logspace_cuda_outERKN3c106ScalarES6_ldRNS1_6TensorEENKUlvE_clEvENKUlvE0_clEvEUllE_EEvT_T0_PN15function_traitsISD_E11result_typeE.num_named_barrier, 0
	.set _ZN12_GLOBAL__N_141elementwise_kernel_with_index_grid_strideIiZZZN2at6native17logspace_cuda_outERKN3c106ScalarES6_ldRNS1_6TensorEENKUlvE_clEvENKUlvE0_clEvEUllE_EEvT_T0_PN15function_traitsISD_E11result_typeE.private_seg_size, 0
	.set _ZN12_GLOBAL__N_141elementwise_kernel_with_index_grid_strideIiZZZN2at6native17logspace_cuda_outERKN3c106ScalarES6_ldRNS1_6TensorEENKUlvE_clEvENKUlvE0_clEvEUllE_EEvT_T0_PN15function_traitsISD_E11result_typeE.uses_vcc, 1
	.set _ZN12_GLOBAL__N_141elementwise_kernel_with_index_grid_strideIiZZZN2at6native17logspace_cuda_outERKN3c106ScalarES6_ldRNS1_6TensorEENKUlvE_clEvENKUlvE0_clEvEUllE_EEvT_T0_PN15function_traitsISD_E11result_typeE.uses_flat_scratch, 0
	.set _ZN12_GLOBAL__N_141elementwise_kernel_with_index_grid_strideIiZZZN2at6native17logspace_cuda_outERKN3c106ScalarES6_ldRNS1_6TensorEENKUlvE_clEvENKUlvE0_clEvEUllE_EEvT_T0_PN15function_traitsISD_E11result_typeE.has_dyn_sized_stack, 0
	.set _ZN12_GLOBAL__N_141elementwise_kernel_with_index_grid_strideIiZZZN2at6native17logspace_cuda_outERKN3c106ScalarES6_ldRNS1_6TensorEENKUlvE_clEvENKUlvE0_clEvEUllE_EEvT_T0_PN15function_traitsISD_E11result_typeE.has_recursion, 0
	.set _ZN12_GLOBAL__N_141elementwise_kernel_with_index_grid_strideIiZZZN2at6native17logspace_cuda_outERKN3c106ScalarES6_ldRNS1_6TensorEENKUlvE_clEvENKUlvE0_clEvEUllE_EEvT_T0_PN15function_traitsISD_E11result_typeE.has_indirect_call, 0
	.section	.AMDGPU.csdata,"",@progbits
; Kernel info:
; codeLenInByte = 1432
; TotalNumSgprs: 32
; NumVgprs: 28
; NumAgprs: 0
; TotalNumVgprs: 28
; ScratchSize: 0
; MemoryBound: 0
; FloatMode: 240
; IeeeMode: 1
; LDSByteSize: 0 bytes/workgroup (compile time only)
; SGPRBlocks: 3
; VGPRBlocks: 3
; NumSGPRsForWavesPerEU: 32
; NumVGPRsForWavesPerEU: 28
; AccumOffset: 28
; Occupancy: 8
; WaveLimiterHint : 0
; COMPUTE_PGM_RSRC2:SCRATCH_EN: 0
; COMPUTE_PGM_RSRC2:USER_SGPR: 2
; COMPUTE_PGM_RSRC2:TRAP_HANDLER: 0
; COMPUTE_PGM_RSRC2:TGID_X_EN: 1
; COMPUTE_PGM_RSRC2:TGID_Y_EN: 0
; COMPUTE_PGM_RSRC2:TGID_Z_EN: 0
; COMPUTE_PGM_RSRC2:TIDIG_COMP_CNT: 0
; COMPUTE_PGM_RSRC3_GFX90A:ACCUM_OFFSET: 6
; COMPUTE_PGM_RSRC3_GFX90A:TG_SPLIT: 0
	.section	.text._ZN12_GLOBAL__N_141elementwise_kernel_with_index_grid_strideIlZZZN2at6native17logspace_cuda_outERKN3c106ScalarES6_ldRNS1_6TensorEENKUlvE_clEvENKUlvE0_clEvEUllE_EEvT_T0_PN15function_traitsISD_E11result_typeE,"axG",@progbits,_ZN12_GLOBAL__N_141elementwise_kernel_with_index_grid_strideIlZZZN2at6native17logspace_cuda_outERKN3c106ScalarES6_ldRNS1_6TensorEENKUlvE_clEvENKUlvE0_clEvEUllE_EEvT_T0_PN15function_traitsISD_E11result_typeE,comdat
	.globl	_ZN12_GLOBAL__N_141elementwise_kernel_with_index_grid_strideIlZZZN2at6native17logspace_cuda_outERKN3c106ScalarES6_ldRNS1_6TensorEENKUlvE_clEvENKUlvE0_clEvEUllE_EEvT_T0_PN15function_traitsISD_E11result_typeE ; -- Begin function _ZN12_GLOBAL__N_141elementwise_kernel_with_index_grid_strideIlZZZN2at6native17logspace_cuda_outERKN3c106ScalarES6_ldRNS1_6TensorEENKUlvE_clEvENKUlvE0_clEvEUllE_EEvT_T0_PN15function_traitsISD_E11result_typeE
	.p2align	8
	.type	_ZN12_GLOBAL__N_141elementwise_kernel_with_index_grid_strideIlZZZN2at6native17logspace_cuda_outERKN3c106ScalarES6_ldRNS1_6TensorEENKUlvE_clEvENKUlvE0_clEvEUllE_EEvT_T0_PN15function_traitsISD_E11result_typeE,@function
_ZN12_GLOBAL__N_141elementwise_kernel_with_index_grid_strideIlZZZN2at6native17logspace_cuda_outERKN3c106ScalarES6_ldRNS1_6TensorEENKUlvE_clEvENKUlvE0_clEvEUllE_EEvT_T0_PN15function_traitsISD_E11result_typeE: ; @_ZN12_GLOBAL__N_141elementwise_kernel_with_index_grid_strideIlZZZN2at6native17logspace_cuda_outERKN3c106ScalarES6_ldRNS1_6TensorEENKUlvE_clEvENKUlvE0_clEvEUllE_EEvT_T0_PN15function_traitsISD_E11result_typeE
; %bb.0:
	s_load_dword s3, s[0:1], 0x3c
	s_load_dwordx2 s[8:9], s[0:1], 0x0
	s_add_u32 s10, s0, 48
	s_addc_u32 s11, s1, 0
	v_mov_b32_e32 v1, 0
	s_waitcnt lgkmcnt(0)
	s_and_b32 s3, s3, 0xffff
	v_mov_b32_e32 v2, s2
	v_mad_u64_u32 v[0:1], s[4:5], s3, v2, v[0:1]
	v_cmp_gt_i64_e32 vcc, s[8:9], v[0:1]
	s_and_saveexec_b64 s[4:5], vcc
	s_cbranch_execz .LBB25_7
; %bb.1:
	s_load_dword s2, s[10:11], 0x0
	s_load_dwordx4 s[20:23], s[0:1], 0x8
	s_load_dword s16, s[0:1], 0x18
	s_load_dwordx4 s[4:7], s[0:1], 0x20
	v_not_b32_e32 v3, v1
	s_waitcnt lgkmcnt(0)
	s_mul_hi_u32 s11, s3, s2
	s_and_b32 s0, s20, 0xffff
	s_sext_i32_i16 s0, s0
	s_bfe_i32 s1, s20, 0x80000
	s_ashr_i32 s0, s0, 8
	v_cvt_f32_i32_e32 v4, s0
	s_sext_i32_i16 s0, s1
	v_cvt_f32_i32_e32 v5, s0
	v_not_b32_e32 v2, v0
                                        ; implicit-def: $vgpr8
	s_mul_i32 s10, s3, s2
	v_cmp_eq_f32_e64 s[12:13], s21, 1.0
	v_lshl_add_u64 v[2:3], v[2:3], 0, s[22:23]
	s_mov_b64 s[14:15], 0
	v_mov_b32_e32 v6, s21
	s_mov_b32 s17, 0x3f2aaaab
	v_mov_b32_e32 v7, 0x3e91f4c4
	s_mov_b32 s18, 0x3f317218
	s_movk_i32 s19, 0x204
	s_mov_b32 s20, 0x7f800000
	s_mov_b32 s21, 0x42b17218
	v_mov_b32_e32 v8, 0x37000000
	s_mov_b32 s22, 0x3fb8aa3b
	s_mov_b32 s23, 0xc2ce8ed0
	v_mov_b32_e32 v9, 0x7f800000
	s_brev_b32 s24, -2
	v_mov_b32_e32 v10, 0x7fc00000
	v_mov_b32_e32 v11, s11
	s_branch .LBB25_3
.LBB25_2:                               ;   in Loop: Header=BB25_3 Depth=1
	s_or_b64 exec, exec, s[0:1]
	v_cndmask_b32_e64 v26, v12, 1.0, s[12:13]
	v_cmp_neq_f32_e32 vcc, 0, v26
	v_cmp_neq_f32_e64 s[2:3], v26, |v26|
	s_nop 0
	v_cndmask_b32_e32 v27, 1.0, v6, vcc
	v_frexp_mant_f32_e64 v12, |v27|
	v_cmp_gt_f32_e32 vcc, s17, v12
	v_cmp_lt_f32_e64 s[26:27], |v27|, 1.0
	s_xor_b64 s[2:3], s[2:3], s[26:27]
	v_cndmask_b32_e64 v13, 1.0, 2.0, vcc
	v_mul_f32_e32 v12, v12, v13
	v_add_f32_e32 v15, 1.0, v12
	v_rcp_f32_e32 v20, v15
	v_add_f32_e32 v13, -1.0, v15
	v_sub_f32_e32 v17, v12, v13
	v_add_f32_e32 v13, -1.0, v12
	v_mul_f32_e32 v21, v13, v20
	v_mul_f32_e32 v14, v15, v21
	v_fma_f32 v16, v21, v15, -v14
	v_fmac_f32_e32 v16, v21, v17
	v_add_f32_e32 v12, v14, v16
	v_sub_f32_e32 v15, v13, v12
	v_pk_add_f32 v[18:19], v[12:13], v[14:15] neg_lo:[0,1] neg_hi:[0,1]
	v_mov_b32_e32 v17, v12
	v_pk_add_f32 v[12:13], v[18:19], v[16:17] neg_lo:[0,1] neg_hi:[0,1]
	v_cmp_class_f32_e64 s[26:27], v27, s19
	v_add_f32_e32 v12, v12, v13
	v_add_f32_e32 v12, v15, v12
	v_mul_f32_e32 v13, v20, v12
	v_add_f32_e32 v12, v21, v13
	v_sub_f32_e32 v14, v12, v21
	v_sub_f32_e32 v22, v13, v14
	v_mul_f32_e32 v13, v12, v12
	v_fma_f32 v15, v12, v12, -v13
	v_add_f32_e32 v14, v22, v22
	v_fmac_f32_e32 v15, v12, v14
	v_add_f32_e32 v14, v13, v15
	v_fmamk_f32 v16, v14, 0x3e76c4e1, v7
	v_fmaak_f32 v16, v14, v16, 0x3ecccdef
	v_sub_f32_e32 v13, v14, v13
	v_sub_f32_e32 v23, v15, v13
	v_mul_f32_e32 v13, v14, v16
	v_fma_f32 v15, v14, v16, -v13
	v_fmac_f32_e32 v15, v23, v16
	v_add_f32_e32 v16, v13, v15
	v_add_f32_e32 v17, 0x3f2aaaaa, v16
	v_sub_f32_e32 v13, v16, v13
	v_sub_f32_e32 v13, v15, v13
	v_add_f32_e32 v15, 0xbf2aaaaa, v17
	v_add_f32_e32 v13, 0x31739010, v13
	v_sub_f32_e32 v15, v16, v15
	v_pk_mul_f32 v[18:19], v[12:13], v[14:15]
	v_pk_add_f32 v[20:21], v[12:13], v[14:15]
	v_fma_f32 v16, v14, v12, -v18
	v_fmac_f32_e32 v16, v14, v22
	v_mov_b32_e32 v19, v21
	v_fmac_f32_e32 v16, v23, v12
	v_pk_add_f32 v[14:15], v[18:19], v[16:17]
	v_ldexp_f32 v24, v22, 1
	v_sub_f32_e32 v13, v14, v18
	v_sub_f32_e32 v13, v16, v13
	;; [unrolled: 1-line block ×3, first 2 shown]
	v_add_f32_e32 v20, v21, v16
	v_pk_mul_f32 v[16:17], v[14:15], v[14:15] op_sel:[0,1] op_sel_hi:[1,0]
	v_cvt_f64_f32_e64 v[18:19], |v27|
	v_frexp_exp_i32_f64_e32 v17, v[18:19]
	v_subbrev_co_u32_e32 v17, vcc, 0, v17, vcc
	v_cvt_f32_i32_e32 v17, v17
	v_fma_f32 v18, v14, v15, -v16
	v_fmac_f32_e32 v18, v14, v20
	v_fmac_f32_e32 v18, v13, v15
	v_mul_f32_e32 v14, 0x3f317218, v17
	v_fma_f32 v20, v17, s18, -v14
	v_fmac_f32_e32 v20, 0xb102e308, v17
	v_ldexp_f32 v21, v12, 1
	v_add_f32_e32 v15, v16, v18
	v_pk_add_f32 v[12:13], v[14:15], v[20:21]
	v_mov_b32_e32 v22, v15
	v_mov_b32_e32 v23, v13
	;; [unrolled: 1-line block ×3, first 2 shown]
	v_pk_add_f32 v[16:17], v[22:23], v[16:17] neg_lo:[0,1] neg_hi:[0,1]
	v_mov_b32_e32 v19, v15
	v_pk_add_f32 v[16:17], v[18:19], v[16:17] neg_lo:[0,1] neg_hi:[0,1]
	v_mov_b32_e32 v21, v12
	v_add_f32_e32 v15, v24, v16
	v_add_f32_e32 v15, v15, v17
	v_pk_add_f32 v[16:17], v[12:13], v[14:15] neg_lo:[0,1] neg_hi:[0,1]
	v_pk_add_f32 v[18:19], v[12:13], v[14:15]
	v_mov_b32_e32 v14, v15
	v_mov_b32_e32 v17, v19
	v_pk_add_f32 v[22:23], v[20:21], v[16:17] neg_lo:[0,1] neg_hi:[0,1]
	v_pk_add_f32 v[16:17], v[20:21], v[16:17]
	v_mov_b32_e32 v15, v12
	v_pk_add_f32 v[20:21], v[16:17], v[12:13] op_sel:[1,0] op_sel_hi:[0,1] neg_lo:[0,1] neg_hi:[0,1]
	v_pk_add_f32 v[24:25], v[18:19], v[20:21] op_sel_hi:[1,0] neg_lo:[0,1] neg_hi:[0,1]
	v_mov_b32_e32 v18, v19
	v_mov_b32_e32 v19, v17
	v_pk_mov_b32 v[20:21], v[12:13], v[20:21] op_sel:[1,0]
	v_mov_b32_e32 v24, v22
	v_pk_add_f32 v[18:19], v[18:19], v[20:21] neg_lo:[0,1] neg_hi:[0,1]
	v_mov_b32_e32 v23, v17
	v_pk_add_f32 v[12:13], v[14:15], v[18:19] neg_lo:[0,1] neg_hi:[0,1]
	s_nop 0
	v_pk_add_f32 v[14:15], v[24:25], v[12:13]
	s_nop 0
	v_pk_add_f32 v[18:19], v[14:15], v[14:15] op_sel:[0,1] op_sel_hi:[1,0]
	s_nop 0
	v_pk_add_f32 v[16:17], v[16:17], v[18:19] op_sel:[1,0] op_sel_hi:[0,1]
	v_mov_b32_e32 v15, v16
	v_pk_add_f32 v[20:21], v[14:15], v[22:23] neg_lo:[0,1] neg_hi:[0,1]
	v_mov_b32_e32 v13, v18
	v_sub_f32_e32 v14, v14, v20
	v_pk_add_f32 v[12:13], v[12:13], v[20:21] neg_lo:[0,1] neg_hi:[0,1]
	v_sub_f32_e32 v14, v22, v14
	v_add_f32_e32 v12, v12, v14
	v_add_f32_e32 v12, v12, v13
	;; [unrolled: 1-line block ×3, first 2 shown]
	v_sub_f32_e32 v14, v13, v16
	v_sub_f32_e32 v12, v12, v14
	v_mul_f32_e32 v14, v26, v13
	v_fma_f32 v13, v26, v13, -v14
	v_fmac_f32_e32 v13, v26, v12
	v_add_f32_e32 v12, v14, v13
	v_cmp_class_f32_e64 vcc, v14, s19
	v_sub_f32_e32 v15, v12, v14
	v_sub_f32_e32 v13, v13, v15
	v_cndmask_b32_e32 v12, v12, v14, vcc
	v_cmp_eq_f32_e32 vcc, s21, v12
	s_nop 1
	v_cndmask_b32_e32 v14, 0, v8, vcc
	v_sub_f32_e32 v15, v12, v14
	v_mul_f32_e32 v16, 0x3fb8aa3b, v15
	v_fma_f32 v17, v15, s22, -v16
	v_rndne_f32_e32 v18, v16
	v_fmac_f32_e32 v17, 0x32a5705f, v15
	v_sub_f32_e32 v16, v16, v18
	v_add_f32_e32 v16, v16, v17
	v_exp_f32_e32 v16, v16
	v_cvt_i32_f32_e32 v17, v18
	v_cmp_neq_f32_e64 vcc, |v12|, s20
	s_nop 1
	v_cndmask_b32_e32 v12, 0, v13, vcc
	v_ldexp_f32 v13, v16, v17
	v_cmp_ngt_f32_e32 vcc, s23, v15
	v_add_f32_e32 v12, v14, v12
	s_nop 0
	v_cndmask_b32_e32 v13, 0, v13, vcc
	v_cmp_nlt_f32_e32 vcc, s21, v15
	s_nop 1
	v_cndmask_b32_e32 v13, v9, v13, vcc
	v_fma_f32 v12, v13, v12, v13
	v_cmp_class_f32_e64 vcc, v13, s19
	s_nop 1
	v_cndmask_b32_e32 v12, v12, v13, vcc
	v_trunc_f32_e32 v13, v26
	v_cmp_eq_f32_e32 vcc, v13, v26
	v_mul_f32_e32 v13, 0.5, v26
	v_trunc_f32_e32 v14, v13
	v_cmp_neq_f32_e64 s[0:1], v14, v13
	s_and_b64 s[0:1], vcc, s[0:1]
	s_nop 0
	v_cndmask_b32_e64 v13, 1.0, v27, s[0:1]
	v_bfi_b32 v12, s24, v12, v13
	v_cndmask_b32_e32 v13, v10, v12, vcc
	v_cmp_gt_f32_e32 vcc, 0, v27
	v_cndmask_b32_e64 v14, 0, v27, s[0:1]
	s_nop 0
	v_cndmask_b32_e32 v12, v12, v13, vcc
	v_cndmask_b32_e64 v13, v9, 0, s[2:3]
	v_cmp_neq_f32_e64 vcc, |v27|, 1.0
	v_cmp_gt_f32_e64 s[2:3], 0, v26
	s_nop 0
	v_cndmask_b32_e32 v13, 1.0, v13, vcc
	v_cmp_class_f32_e64 vcc, v26, s19
	s_nop 1
	v_cndmask_b32_e32 v12, v12, v13, vcc
	v_cmp_eq_f32_e32 vcc, 0, v27
	s_xor_b64 s[2:3], s[2:3], vcc
	v_cndmask_b32_e64 v13, v9, 0, s[2:3]
	v_bfi_b32 v13, s24, v13, v14
	s_or_b64 vcc, vcc, s[26:27]
	v_cndmask_b32_e32 v12, v12, v13, vcc
	v_cmp_o_f32_e32 vcc, v27, v26
	s_nop 1
	v_cndmask_b32_e32 v12, v10, v12, vcc
	v_cvt_i32_f32_e32 v14, v12
	v_lshl_add_u64 v[12:13], s[6:7], 0, v[0:1]
	v_lshl_add_u64 v[0:1], v[0:1], 0, s[10:11]
	v_cmp_le_i64_e32 vcc, s[8:9], v[0:1]
	s_or_b64 s[14:15], vcc, s[14:15]
	v_subrev_co_u32_e32 v2, vcc, s10, v2
	global_store_byte v[12:13], v14, off
	s_nop 0
	v_subb_co_u32_e32 v3, vcc, v3, v11, vcc
	s_andn2_b64 exec, exec, s[14:15]
	s_cbranch_execz .LBB25_7
.LBB25_3:                               ; =>This Inner Loop Header: Depth=1
	v_cmp_le_i64_e32 vcc, s[4:5], v[0:1]
                                        ; implicit-def: $vgpr12
	s_and_saveexec_b64 s[0:1], vcc
	s_xor_b64 s[0:1], exec, s[0:1]
	s_cbranch_execz .LBB25_5
; %bb.4:                                ;   in Loop: Header=BB25_3 Depth=1
	v_xor_b32_e32 v13, v2, v3
	v_ffbh_i32_e32 v12, v3
	v_ashrrev_i32_e32 v13, 31, v13
	v_add_u32_e32 v12, -1, v12
	v_add_u32_e32 v13, 32, v13
	v_min_u32_e32 v14, v12, v13
	v_lshlrev_b64 v[12:13], v14, v[2:3]
	v_min_u32_e32 v12, 1, v12
	v_or_b32_e32 v12, v13, v12
	v_cvt_f32_i32_e32 v12, v12
	v_sub_u32_e32 v13, 32, v14
	v_ldexp_f32 v12, v12, v13
	v_fma_f32 v12, -s16, v12, v4
.LBB25_5:                               ;   in Loop: Header=BB25_3 Depth=1
	s_andn2_saveexec_b64 s[0:1], s[0:1]
	s_cbranch_execz .LBB25_2
; %bb.6:                                ;   in Loop: Header=BB25_3 Depth=1
	v_ffbh_u32_e32 v12, v1
	v_min_u32_e32 v14, 32, v12
	v_lshlrev_b64 v[12:13], v14, v[0:1]
	v_min_u32_e32 v12, 1, v12
	v_or_b32_e32 v12, v13, v12
	v_cvt_f32_u32_e32 v12, v12
	v_sub_u32_e32 v13, 32, v14
	v_ldexp_f32 v12, v12, v13
	v_fma_f32 v12, s16, v12, v5
	s_branch .LBB25_2
.LBB25_7:
	s_endpgm
	.section	.rodata,"a",@progbits
	.p2align	6, 0x0
	.amdhsa_kernel _ZN12_GLOBAL__N_141elementwise_kernel_with_index_grid_strideIlZZZN2at6native17logspace_cuda_outERKN3c106ScalarES6_ldRNS1_6TensorEENKUlvE_clEvENKUlvE0_clEvEUllE_EEvT_T0_PN15function_traitsISD_E11result_typeE
		.amdhsa_group_segment_fixed_size 0
		.amdhsa_private_segment_fixed_size 0
		.amdhsa_kernarg_size 304
		.amdhsa_user_sgpr_count 2
		.amdhsa_user_sgpr_dispatch_ptr 0
		.amdhsa_user_sgpr_queue_ptr 0
		.amdhsa_user_sgpr_kernarg_segment_ptr 1
		.amdhsa_user_sgpr_dispatch_id 0
		.amdhsa_user_sgpr_kernarg_preload_length 0
		.amdhsa_user_sgpr_kernarg_preload_offset 0
		.amdhsa_user_sgpr_private_segment_size 0
		.amdhsa_uses_dynamic_stack 0
		.amdhsa_enable_private_segment 0
		.amdhsa_system_sgpr_workgroup_id_x 1
		.amdhsa_system_sgpr_workgroup_id_y 0
		.amdhsa_system_sgpr_workgroup_id_z 0
		.amdhsa_system_sgpr_workgroup_info 0
		.amdhsa_system_vgpr_workitem_id 0
		.amdhsa_next_free_vgpr 28
		.amdhsa_next_free_sgpr 28
		.amdhsa_accum_offset 28
		.amdhsa_reserve_vcc 1
		.amdhsa_float_round_mode_32 0
		.amdhsa_float_round_mode_16_64 0
		.amdhsa_float_denorm_mode_32 3
		.amdhsa_float_denorm_mode_16_64 3
		.amdhsa_dx10_clamp 1
		.amdhsa_ieee_mode 1
		.amdhsa_fp16_overflow 0
		.amdhsa_tg_split 0
		.amdhsa_exception_fp_ieee_invalid_op 0
		.amdhsa_exception_fp_denorm_src 0
		.amdhsa_exception_fp_ieee_div_zero 0
		.amdhsa_exception_fp_ieee_overflow 0
		.amdhsa_exception_fp_ieee_underflow 0
		.amdhsa_exception_fp_ieee_inexact 0
		.amdhsa_exception_int_div_zero 0
	.end_amdhsa_kernel
	.section	.text._ZN12_GLOBAL__N_141elementwise_kernel_with_index_grid_strideIlZZZN2at6native17logspace_cuda_outERKN3c106ScalarES6_ldRNS1_6TensorEENKUlvE_clEvENKUlvE0_clEvEUllE_EEvT_T0_PN15function_traitsISD_E11result_typeE,"axG",@progbits,_ZN12_GLOBAL__N_141elementwise_kernel_with_index_grid_strideIlZZZN2at6native17logspace_cuda_outERKN3c106ScalarES6_ldRNS1_6TensorEENKUlvE_clEvENKUlvE0_clEvEUllE_EEvT_T0_PN15function_traitsISD_E11result_typeE,comdat
.Lfunc_end25:
	.size	_ZN12_GLOBAL__N_141elementwise_kernel_with_index_grid_strideIlZZZN2at6native17logspace_cuda_outERKN3c106ScalarES6_ldRNS1_6TensorEENKUlvE_clEvENKUlvE0_clEvEUllE_EEvT_T0_PN15function_traitsISD_E11result_typeE, .Lfunc_end25-_ZN12_GLOBAL__N_141elementwise_kernel_with_index_grid_strideIlZZZN2at6native17logspace_cuda_outERKN3c106ScalarES6_ldRNS1_6TensorEENKUlvE_clEvENKUlvE0_clEvEUllE_EEvT_T0_PN15function_traitsISD_E11result_typeE
                                        ; -- End function
	.set _ZN12_GLOBAL__N_141elementwise_kernel_with_index_grid_strideIlZZZN2at6native17logspace_cuda_outERKN3c106ScalarES6_ldRNS1_6TensorEENKUlvE_clEvENKUlvE0_clEvEUllE_EEvT_T0_PN15function_traitsISD_E11result_typeE.num_vgpr, 28
	.set _ZN12_GLOBAL__N_141elementwise_kernel_with_index_grid_strideIlZZZN2at6native17logspace_cuda_outERKN3c106ScalarES6_ldRNS1_6TensorEENKUlvE_clEvENKUlvE0_clEvEUllE_EEvT_T0_PN15function_traitsISD_E11result_typeE.num_agpr, 0
	.set _ZN12_GLOBAL__N_141elementwise_kernel_with_index_grid_strideIlZZZN2at6native17logspace_cuda_outERKN3c106ScalarES6_ldRNS1_6TensorEENKUlvE_clEvENKUlvE0_clEvEUllE_EEvT_T0_PN15function_traitsISD_E11result_typeE.numbered_sgpr, 28
	.set _ZN12_GLOBAL__N_141elementwise_kernel_with_index_grid_strideIlZZZN2at6native17logspace_cuda_outERKN3c106ScalarES6_ldRNS1_6TensorEENKUlvE_clEvENKUlvE0_clEvEUllE_EEvT_T0_PN15function_traitsISD_E11result_typeE.num_named_barrier, 0
	.set _ZN12_GLOBAL__N_141elementwise_kernel_with_index_grid_strideIlZZZN2at6native17logspace_cuda_outERKN3c106ScalarES6_ldRNS1_6TensorEENKUlvE_clEvENKUlvE0_clEvEUllE_EEvT_T0_PN15function_traitsISD_E11result_typeE.private_seg_size, 0
	.set _ZN12_GLOBAL__N_141elementwise_kernel_with_index_grid_strideIlZZZN2at6native17logspace_cuda_outERKN3c106ScalarES6_ldRNS1_6TensorEENKUlvE_clEvENKUlvE0_clEvEUllE_EEvT_T0_PN15function_traitsISD_E11result_typeE.uses_vcc, 1
	.set _ZN12_GLOBAL__N_141elementwise_kernel_with_index_grid_strideIlZZZN2at6native17logspace_cuda_outERKN3c106ScalarES6_ldRNS1_6TensorEENKUlvE_clEvENKUlvE0_clEvEUllE_EEvT_T0_PN15function_traitsISD_E11result_typeE.uses_flat_scratch, 0
	.set _ZN12_GLOBAL__N_141elementwise_kernel_with_index_grid_strideIlZZZN2at6native17logspace_cuda_outERKN3c106ScalarES6_ldRNS1_6TensorEENKUlvE_clEvENKUlvE0_clEvEUllE_EEvT_T0_PN15function_traitsISD_E11result_typeE.has_dyn_sized_stack, 0
	.set _ZN12_GLOBAL__N_141elementwise_kernel_with_index_grid_strideIlZZZN2at6native17logspace_cuda_outERKN3c106ScalarES6_ldRNS1_6TensorEENKUlvE_clEvENKUlvE0_clEvEUllE_EEvT_T0_PN15function_traitsISD_E11result_typeE.has_recursion, 0
	.set _ZN12_GLOBAL__N_141elementwise_kernel_with_index_grid_strideIlZZZN2at6native17logspace_cuda_outERKN3c106ScalarES6_ldRNS1_6TensorEENKUlvE_clEvENKUlvE0_clEvEUllE_EEvT_T0_PN15function_traitsISD_E11result_typeE.has_indirect_call, 0
	.section	.AMDGPU.csdata,"",@progbits
; Kernel info:
; codeLenInByte = 1472
; TotalNumSgprs: 34
; NumVgprs: 28
; NumAgprs: 0
; TotalNumVgprs: 28
; ScratchSize: 0
; MemoryBound: 0
; FloatMode: 240
; IeeeMode: 1
; LDSByteSize: 0 bytes/workgroup (compile time only)
; SGPRBlocks: 4
; VGPRBlocks: 3
; NumSGPRsForWavesPerEU: 34
; NumVGPRsForWavesPerEU: 28
; AccumOffset: 28
; Occupancy: 8
; WaveLimiterHint : 0
; COMPUTE_PGM_RSRC2:SCRATCH_EN: 0
; COMPUTE_PGM_RSRC2:USER_SGPR: 2
; COMPUTE_PGM_RSRC2:TRAP_HANDLER: 0
; COMPUTE_PGM_RSRC2:TGID_X_EN: 1
; COMPUTE_PGM_RSRC2:TGID_Y_EN: 0
; COMPUTE_PGM_RSRC2:TGID_Z_EN: 0
; COMPUTE_PGM_RSRC2:TIDIG_COMP_CNT: 0
; COMPUTE_PGM_RSRC3_GFX90A:ACCUM_OFFSET: 6
; COMPUTE_PGM_RSRC3_GFX90A:TG_SPLIT: 0
	.section	.text._ZN12_GLOBAL__N_141elementwise_kernel_with_index_grid_strideIiZZZN2at6native17logspace_cuda_outERKN3c106ScalarES6_ldRNS1_6TensorEENKUlvE_clEvENKUlvE1_clEvEUllE_EEvT_T0_PN15function_traitsISD_E11result_typeE,"axG",@progbits,_ZN12_GLOBAL__N_141elementwise_kernel_with_index_grid_strideIiZZZN2at6native17logspace_cuda_outERKN3c106ScalarES6_ldRNS1_6TensorEENKUlvE_clEvENKUlvE1_clEvEUllE_EEvT_T0_PN15function_traitsISD_E11result_typeE,comdat
	.globl	_ZN12_GLOBAL__N_141elementwise_kernel_with_index_grid_strideIiZZZN2at6native17logspace_cuda_outERKN3c106ScalarES6_ldRNS1_6TensorEENKUlvE_clEvENKUlvE1_clEvEUllE_EEvT_T0_PN15function_traitsISD_E11result_typeE ; -- Begin function _ZN12_GLOBAL__N_141elementwise_kernel_with_index_grid_strideIiZZZN2at6native17logspace_cuda_outERKN3c106ScalarES6_ldRNS1_6TensorEENKUlvE_clEvENKUlvE1_clEvEUllE_EEvT_T0_PN15function_traitsISD_E11result_typeE
	.p2align	8
	.type	_ZN12_GLOBAL__N_141elementwise_kernel_with_index_grid_strideIiZZZN2at6native17logspace_cuda_outERKN3c106ScalarES6_ldRNS1_6TensorEENKUlvE_clEvENKUlvE1_clEvEUllE_EEvT_T0_PN15function_traitsISD_E11result_typeE,@function
_ZN12_GLOBAL__N_141elementwise_kernel_with_index_grid_strideIiZZZN2at6native17logspace_cuda_outERKN3c106ScalarES6_ldRNS1_6TensorEENKUlvE_clEvENKUlvE1_clEvEUllE_EEvT_T0_PN15function_traitsISD_E11result_typeE: ; @_ZN12_GLOBAL__N_141elementwise_kernel_with_index_grid_strideIiZZZN2at6native17logspace_cuda_outERKN3c106ScalarES6_ldRNS1_6TensorEENKUlvE_clEvENKUlvE1_clEvEUllE_EEvT_T0_PN15function_traitsISD_E11result_typeE
; %bb.0:
	s_load_dword s3, s[0:1], 0x44
	s_load_dword s14, s[0:1], 0x0
	s_add_u32 s8, s0, 56
	s_addc_u32 s9, s1, 0
	s_waitcnt lgkmcnt(0)
	s_and_b32 s3, s3, 0xffff
	s_mul_i32 s2, s2, s3
	v_add_u32_e32 v0, s2, v0
	v_cmp_gt_i32_e32 vcc, s14, v0
	s_and_saveexec_b64 s[4:5], vcc
	s_cbranch_execz .LBB26_7
; %bb.1:
	s_load_dwordx4 s[4:7], s[0:1], 0x28
	s_load_dword s2, s[8:9], 0x0
	s_load_dwordx2 s[10:11], s[0:1], 0x8
	s_load_dword s16, s[0:1], 0x10
	s_load_dwordx2 s[12:13], s[0:1], 0x18
	s_load_dword s15, s[0:1], 0x20
	s_waitcnt lgkmcnt(0)
	v_mov_b32_e32 v4, s6
	v_cvt_f32_i32_e32 v6, s11
	v_cvt_f32_i32_e32 v7, s10
	s_mul_i32 s6, s2, s3
	v_ashrrev_i32_e32 v1, 31, v0
	v_mov_b32_e32 v5, s7
	v_not_b32_e32 v3, v1
	v_not_b32_e32 v2, v0
	s_ashr_i32 s7, s6, 31
                                        ; implicit-def: $vgpr10
	v_cmp_eq_f32_e64 s[8:9], s16, 1.0
	v_lshl_add_u64 v[2:3], v[2:3], 0, s[12:13]
	v_lshl_add_u64 v[4:5], v[0:1], 2, v[4:5]
	s_lshl_b64 s[10:11], s[6:7], 2
	s_mov_b64 s[12:13], 0
	v_mov_b32_e32 v8, s16
	s_mov_b32 s16, 0x3f2aaaab
	v_mov_b32_e32 v9, 0x3e91f4c4
	s_mov_b32 s17, 0x3f317218
	s_movk_i32 s18, 0x204
	s_mov_b32 s19, 0x7f800000
	s_mov_b32 s20, 0x42b17218
	v_mov_b32_e32 v10, 0x37000000
	s_mov_b32 s21, 0x3fb8aa3b
	s_mov_b32 s22, 0xc2ce8ed0
	v_mov_b32_e32 v11, 0x7f800000
	s_brev_b32 s23, -2
	v_mov_b32_e32 v12, 0x7fc00000
	v_mov_b32_e32 v13, s7
	s_branch .LBB26_3
.LBB26_2:                               ;   in Loop: Header=BB26_3 Depth=1
	s_or_b64 exec, exec, s[0:1]
	v_cndmask_b32_e64 v28, v14, 1.0, s[8:9]
	v_cmp_neq_f32_e32 vcc, 0, v28
	v_cmp_neq_f32_e64 s[2:3], v28, |v28|
	v_lshl_add_u64 v[0:1], v[0:1], 0, s[6:7]
	v_cndmask_b32_e32 v29, 1.0, v8, vcc
	v_frexp_mant_f32_e64 v14, |v29|
	v_cmp_gt_f32_e32 vcc, s16, v14
	v_cmp_lt_f32_e64 s[24:25], |v29|, 1.0
	s_xor_b64 s[2:3], s[2:3], s[24:25]
	v_cndmask_b32_e64 v15, 1.0, 2.0, vcc
	v_mul_f32_e32 v14, v14, v15
	v_add_f32_e32 v17, 1.0, v14
	v_rcp_f32_e32 v22, v17
	v_add_f32_e32 v15, -1.0, v17
	v_sub_f32_e32 v19, v14, v15
	v_add_f32_e32 v15, -1.0, v14
	v_mul_f32_e32 v23, v15, v22
	v_mul_f32_e32 v16, v17, v23
	v_fma_f32 v18, v23, v17, -v16
	v_fmac_f32_e32 v18, v23, v19
	v_add_f32_e32 v14, v16, v18
	v_sub_f32_e32 v17, v15, v14
	v_pk_add_f32 v[20:21], v[14:15], v[16:17] neg_lo:[0,1] neg_hi:[0,1]
	v_mov_b32_e32 v19, v14
	v_pk_add_f32 v[14:15], v[20:21], v[18:19] neg_lo:[0,1] neg_hi:[0,1]
	v_cmp_class_f32_e64 s[24:25], v29, s18
	v_add_f32_e32 v14, v14, v15
	v_add_f32_e32 v14, v17, v14
	v_mul_f32_e32 v15, v22, v14
	v_add_f32_e32 v14, v23, v15
	v_sub_f32_e32 v16, v14, v23
	v_sub_f32_e32 v24, v15, v16
	v_mul_f32_e32 v15, v14, v14
	v_fma_f32 v17, v14, v14, -v15
	v_add_f32_e32 v16, v24, v24
	v_fmac_f32_e32 v17, v14, v16
	v_add_f32_e32 v16, v15, v17
	v_fmamk_f32 v18, v16, 0x3e76c4e1, v9
	v_fmaak_f32 v18, v16, v18, 0x3ecccdef
	v_sub_f32_e32 v15, v16, v15
	v_sub_f32_e32 v25, v17, v15
	v_mul_f32_e32 v15, v16, v18
	v_fma_f32 v17, v16, v18, -v15
	v_fmac_f32_e32 v17, v25, v18
	v_add_f32_e32 v18, v15, v17
	v_add_f32_e32 v19, 0x3f2aaaaa, v18
	v_sub_f32_e32 v15, v18, v15
	v_sub_f32_e32 v15, v17, v15
	v_add_f32_e32 v17, 0xbf2aaaaa, v19
	v_add_f32_e32 v15, 0x31739010, v15
	v_sub_f32_e32 v17, v18, v17
	v_pk_mul_f32 v[20:21], v[14:15], v[16:17]
	v_pk_add_f32 v[22:23], v[14:15], v[16:17]
	v_fma_f32 v18, v16, v14, -v20
	v_fmac_f32_e32 v18, v16, v24
	v_mov_b32_e32 v21, v23
	v_fmac_f32_e32 v18, v25, v14
	v_pk_add_f32 v[16:17], v[20:21], v[18:19]
	v_ldexp_f32 v26, v24, 1
	v_sub_f32_e32 v15, v16, v20
	v_sub_f32_e32 v15, v18, v15
	;; [unrolled: 1-line block ×3, first 2 shown]
	v_add_f32_e32 v22, v23, v18
	v_pk_mul_f32 v[18:19], v[16:17], v[16:17] op_sel:[0,1] op_sel_hi:[1,0]
	v_cvt_f64_f32_e64 v[20:21], |v29|
	v_frexp_exp_i32_f64_e32 v19, v[20:21]
	v_subbrev_co_u32_e32 v19, vcc, 0, v19, vcc
	v_cvt_f32_i32_e32 v19, v19
	v_fma_f32 v20, v16, v17, -v18
	v_fmac_f32_e32 v20, v16, v22
	v_fmac_f32_e32 v20, v15, v17
	v_mul_f32_e32 v16, 0x3f317218, v19
	v_fma_f32 v22, v19, s17, -v16
	v_fmac_f32_e32 v22, 0xb102e308, v19
	v_ldexp_f32 v23, v14, 1
	v_add_f32_e32 v17, v18, v20
	v_pk_add_f32 v[14:15], v[16:17], v[22:23]
	v_mov_b32_e32 v24, v17
	v_mov_b32_e32 v25, v15
	v_mov_b32_e32 v19, v23
	v_pk_add_f32 v[18:19], v[24:25], v[18:19] neg_lo:[0,1] neg_hi:[0,1]
	v_mov_b32_e32 v21, v17
	v_pk_add_f32 v[18:19], v[20:21], v[18:19] neg_lo:[0,1] neg_hi:[0,1]
	v_mov_b32_e32 v23, v14
	v_add_f32_e32 v17, v26, v18
	v_add_f32_e32 v17, v17, v19
	v_pk_add_f32 v[18:19], v[14:15], v[16:17] neg_lo:[0,1] neg_hi:[0,1]
	v_pk_add_f32 v[20:21], v[14:15], v[16:17]
	v_mov_b32_e32 v16, v17
	v_mov_b32_e32 v19, v21
	v_pk_add_f32 v[24:25], v[22:23], v[18:19] neg_lo:[0,1] neg_hi:[0,1]
	v_pk_add_f32 v[18:19], v[22:23], v[18:19]
	v_mov_b32_e32 v17, v14
	v_pk_add_f32 v[22:23], v[18:19], v[14:15] op_sel:[1,0] op_sel_hi:[0,1] neg_lo:[0,1] neg_hi:[0,1]
	v_pk_add_f32 v[26:27], v[20:21], v[22:23] op_sel_hi:[1,0] neg_lo:[0,1] neg_hi:[0,1]
	v_mov_b32_e32 v20, v21
	v_mov_b32_e32 v21, v19
	v_pk_mov_b32 v[22:23], v[14:15], v[22:23] op_sel:[1,0]
	v_mov_b32_e32 v26, v24
	v_pk_add_f32 v[20:21], v[20:21], v[22:23] neg_lo:[0,1] neg_hi:[0,1]
	v_mov_b32_e32 v25, v19
	v_pk_add_f32 v[14:15], v[16:17], v[20:21] neg_lo:[0,1] neg_hi:[0,1]
	s_nop 0
	v_pk_add_f32 v[16:17], v[26:27], v[14:15]
	s_nop 0
	v_pk_add_f32 v[20:21], v[16:17], v[16:17] op_sel:[0,1] op_sel_hi:[1,0]
	s_nop 0
	v_pk_add_f32 v[18:19], v[18:19], v[20:21] op_sel:[1,0] op_sel_hi:[0,1]
	v_mov_b32_e32 v17, v18
	v_pk_add_f32 v[22:23], v[16:17], v[24:25] neg_lo:[0,1] neg_hi:[0,1]
	v_mov_b32_e32 v15, v20
	v_sub_f32_e32 v16, v16, v22
	v_pk_add_f32 v[14:15], v[14:15], v[22:23] neg_lo:[0,1] neg_hi:[0,1]
	v_sub_f32_e32 v16, v24, v16
	v_add_f32_e32 v14, v14, v16
	v_add_f32_e32 v14, v14, v15
	v_add_f32_e32 v15, v18, v14
	v_sub_f32_e32 v16, v15, v18
	v_sub_f32_e32 v14, v14, v16
	v_mul_f32_e32 v16, v28, v15
	v_fma_f32 v15, v28, v15, -v16
	v_fmac_f32_e32 v15, v28, v14
	v_add_f32_e32 v14, v16, v15
	v_cmp_class_f32_e64 vcc, v16, s18
	v_sub_f32_e32 v17, v14, v16
	v_sub_f32_e32 v15, v15, v17
	v_cndmask_b32_e32 v14, v14, v16, vcc
	v_cmp_eq_f32_e32 vcc, s20, v14
	s_nop 1
	v_cndmask_b32_e32 v16, 0, v10, vcc
	v_sub_f32_e32 v17, v14, v16
	v_mul_f32_e32 v18, 0x3fb8aa3b, v17
	v_fma_f32 v19, v17, s21, -v18
	v_rndne_f32_e32 v20, v18
	v_fmac_f32_e32 v19, 0x32a5705f, v17
	v_sub_f32_e32 v18, v18, v20
	v_add_f32_e32 v18, v18, v19
	v_exp_f32_e32 v18, v18
	v_cvt_i32_f32_e32 v19, v20
	v_cmp_neq_f32_e64 vcc, |v14|, s19
	s_nop 1
	v_cndmask_b32_e32 v14, 0, v15, vcc
	v_ldexp_f32 v15, v18, v19
	v_cmp_ngt_f32_e32 vcc, s22, v17
	v_add_f32_e32 v14, v16, v14
	s_nop 0
	v_cndmask_b32_e32 v15, 0, v15, vcc
	v_cmp_nlt_f32_e32 vcc, s20, v17
	s_nop 1
	v_cndmask_b32_e32 v15, v11, v15, vcc
	v_fma_f32 v14, v15, v14, v15
	v_cmp_class_f32_e64 vcc, v15, s18
	s_nop 1
	v_cndmask_b32_e32 v14, v14, v15, vcc
	v_trunc_f32_e32 v15, v28
	v_cmp_eq_f32_e32 vcc, v15, v28
	v_mul_f32_e32 v15, 0.5, v28
	v_trunc_f32_e32 v16, v15
	v_cmp_neq_f32_e64 s[0:1], v16, v15
	s_and_b64 s[0:1], vcc, s[0:1]
	s_nop 0
	v_cndmask_b32_e64 v15, 1.0, v29, s[0:1]
	v_bfi_b32 v14, s23, v14, v15
	v_cndmask_b32_e32 v15, v12, v14, vcc
	v_cmp_gt_f32_e32 vcc, 0, v29
	v_cndmask_b32_e64 v16, 0, v29, s[0:1]
	s_nop 0
	v_cndmask_b32_e32 v14, v14, v15, vcc
	v_cndmask_b32_e64 v15, v11, 0, s[2:3]
	v_cmp_neq_f32_e64 vcc, |v29|, 1.0
	v_cmp_gt_f32_e64 s[2:3], 0, v28
	s_nop 0
	v_cndmask_b32_e32 v15, 1.0, v15, vcc
	v_cmp_class_f32_e64 vcc, v28, s18
	s_nop 1
	v_cndmask_b32_e32 v14, v14, v15, vcc
	v_cmp_eq_f32_e32 vcc, 0, v29
	s_xor_b64 s[2:3], s[2:3], vcc
	v_cndmask_b32_e64 v15, v11, 0, s[2:3]
	v_bfi_b32 v15, s23, v15, v16
	s_or_b64 vcc, vcc, s[24:25]
	v_cndmask_b32_e32 v14, v14, v15, vcc
	v_cmp_o_f32_e32 vcc, v29, v28
	s_nop 1
	v_cndmask_b32_e32 v14, v12, v14, vcc
	v_cvt_i32_f32_e32 v14, v14
	v_subrev_co_u32_e32 v2, vcc, s6, v2
	global_store_dword v[4:5], v14, off
	s_nop 0
	v_subb_co_u32_e32 v3, vcc, v3, v13, vcc
	v_cmp_le_i32_e32 vcc, s14, v0
	s_or_b64 s[12:13], vcc, s[12:13]
	v_lshl_add_u64 v[4:5], v[4:5], 0, s[10:11]
	s_andn2_b64 exec, exec, s[12:13]
	s_cbranch_execz .LBB26_7
.LBB26_3:                               ; =>This Inner Loop Header: Depth=1
	v_cmp_le_i64_e32 vcc, s[4:5], v[0:1]
                                        ; implicit-def: $vgpr14
	s_and_saveexec_b64 s[0:1], vcc
	s_xor_b64 s[0:1], exec, s[0:1]
	s_cbranch_execz .LBB26_5
; %bb.4:                                ;   in Loop: Header=BB26_3 Depth=1
	v_xor_b32_e32 v15, v2, v3
	v_ffbh_i32_e32 v14, v3
	v_ashrrev_i32_e32 v15, 31, v15
	v_add_u32_e32 v14, -1, v14
	v_add_u32_e32 v15, 32, v15
	v_min_u32_e32 v16, v14, v15
	v_lshlrev_b64 v[14:15], v16, v[2:3]
	v_min_u32_e32 v14, 1, v14
	v_or_b32_e32 v14, v15, v14
	v_cvt_f32_i32_e32 v14, v14
	v_sub_u32_e32 v15, 32, v16
	v_ldexp_f32 v14, v14, v15
	v_fma_f32 v14, -s15, v14, v6
.LBB26_5:                               ;   in Loop: Header=BB26_3 Depth=1
	s_andn2_saveexec_b64 s[0:1], s[0:1]
	s_cbranch_execz .LBB26_2
; %bb.6:                                ;   in Loop: Header=BB26_3 Depth=1
	v_cvt_f32_i32_e32 v14, v0
	v_fma_f32 v14, s15, v14, v7
	s_branch .LBB26_2
.LBB26_7:
	s_endpgm
	.section	.rodata,"a",@progbits
	.p2align	6, 0x0
	.amdhsa_kernel _ZN12_GLOBAL__N_141elementwise_kernel_with_index_grid_strideIiZZZN2at6native17logspace_cuda_outERKN3c106ScalarES6_ldRNS1_6TensorEENKUlvE_clEvENKUlvE1_clEvEUllE_EEvT_T0_PN15function_traitsISD_E11result_typeE
		.amdhsa_group_segment_fixed_size 0
		.amdhsa_private_segment_fixed_size 0
		.amdhsa_kernarg_size 312
		.amdhsa_user_sgpr_count 2
		.amdhsa_user_sgpr_dispatch_ptr 0
		.amdhsa_user_sgpr_queue_ptr 0
		.amdhsa_user_sgpr_kernarg_segment_ptr 1
		.amdhsa_user_sgpr_dispatch_id 0
		.amdhsa_user_sgpr_kernarg_preload_length 0
		.amdhsa_user_sgpr_kernarg_preload_offset 0
		.amdhsa_user_sgpr_private_segment_size 0
		.amdhsa_uses_dynamic_stack 0
		.amdhsa_enable_private_segment 0
		.amdhsa_system_sgpr_workgroup_id_x 1
		.amdhsa_system_sgpr_workgroup_id_y 0
		.amdhsa_system_sgpr_workgroup_id_z 0
		.amdhsa_system_sgpr_workgroup_info 0
		.amdhsa_system_vgpr_workitem_id 0
		.amdhsa_next_free_vgpr 30
		.amdhsa_next_free_sgpr 26
		.amdhsa_accum_offset 32
		.amdhsa_reserve_vcc 1
		.amdhsa_float_round_mode_32 0
		.amdhsa_float_round_mode_16_64 0
		.amdhsa_float_denorm_mode_32 3
		.amdhsa_float_denorm_mode_16_64 3
		.amdhsa_dx10_clamp 1
		.amdhsa_ieee_mode 1
		.amdhsa_fp16_overflow 0
		.amdhsa_tg_split 0
		.amdhsa_exception_fp_ieee_invalid_op 0
		.amdhsa_exception_fp_denorm_src 0
		.amdhsa_exception_fp_ieee_div_zero 0
		.amdhsa_exception_fp_ieee_overflow 0
		.amdhsa_exception_fp_ieee_underflow 0
		.amdhsa_exception_fp_ieee_inexact 0
		.amdhsa_exception_int_div_zero 0
	.end_amdhsa_kernel
	.section	.text._ZN12_GLOBAL__N_141elementwise_kernel_with_index_grid_strideIiZZZN2at6native17logspace_cuda_outERKN3c106ScalarES6_ldRNS1_6TensorEENKUlvE_clEvENKUlvE1_clEvEUllE_EEvT_T0_PN15function_traitsISD_E11result_typeE,"axG",@progbits,_ZN12_GLOBAL__N_141elementwise_kernel_with_index_grid_strideIiZZZN2at6native17logspace_cuda_outERKN3c106ScalarES6_ldRNS1_6TensorEENKUlvE_clEvENKUlvE1_clEvEUllE_EEvT_T0_PN15function_traitsISD_E11result_typeE,comdat
.Lfunc_end26:
	.size	_ZN12_GLOBAL__N_141elementwise_kernel_with_index_grid_strideIiZZZN2at6native17logspace_cuda_outERKN3c106ScalarES6_ldRNS1_6TensorEENKUlvE_clEvENKUlvE1_clEvEUllE_EEvT_T0_PN15function_traitsISD_E11result_typeE, .Lfunc_end26-_ZN12_GLOBAL__N_141elementwise_kernel_with_index_grid_strideIiZZZN2at6native17logspace_cuda_outERKN3c106ScalarES6_ldRNS1_6TensorEENKUlvE_clEvENKUlvE1_clEvEUllE_EEvT_T0_PN15function_traitsISD_E11result_typeE
                                        ; -- End function
	.set _ZN12_GLOBAL__N_141elementwise_kernel_with_index_grid_strideIiZZZN2at6native17logspace_cuda_outERKN3c106ScalarES6_ldRNS1_6TensorEENKUlvE_clEvENKUlvE1_clEvEUllE_EEvT_T0_PN15function_traitsISD_E11result_typeE.num_vgpr, 30
	.set _ZN12_GLOBAL__N_141elementwise_kernel_with_index_grid_strideIiZZZN2at6native17logspace_cuda_outERKN3c106ScalarES6_ldRNS1_6TensorEENKUlvE_clEvENKUlvE1_clEvEUllE_EEvT_T0_PN15function_traitsISD_E11result_typeE.num_agpr, 0
	.set _ZN12_GLOBAL__N_141elementwise_kernel_with_index_grid_strideIiZZZN2at6native17logspace_cuda_outERKN3c106ScalarES6_ldRNS1_6TensorEENKUlvE_clEvENKUlvE1_clEvEUllE_EEvT_T0_PN15function_traitsISD_E11result_typeE.numbered_sgpr, 26
	.set _ZN12_GLOBAL__N_141elementwise_kernel_with_index_grid_strideIiZZZN2at6native17logspace_cuda_outERKN3c106ScalarES6_ldRNS1_6TensorEENKUlvE_clEvENKUlvE1_clEvEUllE_EEvT_T0_PN15function_traitsISD_E11result_typeE.num_named_barrier, 0
	.set _ZN12_GLOBAL__N_141elementwise_kernel_with_index_grid_strideIiZZZN2at6native17logspace_cuda_outERKN3c106ScalarES6_ldRNS1_6TensorEENKUlvE_clEvENKUlvE1_clEvEUllE_EEvT_T0_PN15function_traitsISD_E11result_typeE.private_seg_size, 0
	.set _ZN12_GLOBAL__N_141elementwise_kernel_with_index_grid_strideIiZZZN2at6native17logspace_cuda_outERKN3c106ScalarES6_ldRNS1_6TensorEENKUlvE_clEvENKUlvE1_clEvEUllE_EEvT_T0_PN15function_traitsISD_E11result_typeE.uses_vcc, 1
	.set _ZN12_GLOBAL__N_141elementwise_kernel_with_index_grid_strideIiZZZN2at6native17logspace_cuda_outERKN3c106ScalarES6_ldRNS1_6TensorEENKUlvE_clEvENKUlvE1_clEvEUllE_EEvT_T0_PN15function_traitsISD_E11result_typeE.uses_flat_scratch, 0
	.set _ZN12_GLOBAL__N_141elementwise_kernel_with_index_grid_strideIiZZZN2at6native17logspace_cuda_outERKN3c106ScalarES6_ldRNS1_6TensorEENKUlvE_clEvENKUlvE1_clEvEUllE_EEvT_T0_PN15function_traitsISD_E11result_typeE.has_dyn_sized_stack, 0
	.set _ZN12_GLOBAL__N_141elementwise_kernel_with_index_grid_strideIiZZZN2at6native17logspace_cuda_outERKN3c106ScalarES6_ldRNS1_6TensorEENKUlvE_clEvENKUlvE1_clEvEUllE_EEvT_T0_PN15function_traitsISD_E11result_typeE.has_recursion, 0
	.set _ZN12_GLOBAL__N_141elementwise_kernel_with_index_grid_strideIiZZZN2at6native17logspace_cuda_outERKN3c106ScalarES6_ldRNS1_6TensorEENKUlvE_clEvENKUlvE1_clEvEUllE_EEvT_T0_PN15function_traitsISD_E11result_typeE.has_indirect_call, 0
	.section	.AMDGPU.csdata,"",@progbits
; Kernel info:
; codeLenInByte = 1436
; TotalNumSgprs: 32
; NumVgprs: 30
; NumAgprs: 0
; TotalNumVgprs: 30
; ScratchSize: 0
; MemoryBound: 0
; FloatMode: 240
; IeeeMode: 1
; LDSByteSize: 0 bytes/workgroup (compile time only)
; SGPRBlocks: 3
; VGPRBlocks: 3
; NumSGPRsForWavesPerEU: 32
; NumVGPRsForWavesPerEU: 30
; AccumOffset: 32
; Occupancy: 8
; WaveLimiterHint : 0
; COMPUTE_PGM_RSRC2:SCRATCH_EN: 0
; COMPUTE_PGM_RSRC2:USER_SGPR: 2
; COMPUTE_PGM_RSRC2:TRAP_HANDLER: 0
; COMPUTE_PGM_RSRC2:TGID_X_EN: 1
; COMPUTE_PGM_RSRC2:TGID_Y_EN: 0
; COMPUTE_PGM_RSRC2:TGID_Z_EN: 0
; COMPUTE_PGM_RSRC2:TIDIG_COMP_CNT: 0
; COMPUTE_PGM_RSRC3_GFX90A:ACCUM_OFFSET: 7
; COMPUTE_PGM_RSRC3_GFX90A:TG_SPLIT: 0
	.section	.text._ZN12_GLOBAL__N_141elementwise_kernel_with_index_grid_strideIlZZZN2at6native17logspace_cuda_outERKN3c106ScalarES6_ldRNS1_6TensorEENKUlvE_clEvENKUlvE1_clEvEUllE_EEvT_T0_PN15function_traitsISD_E11result_typeE,"axG",@progbits,_ZN12_GLOBAL__N_141elementwise_kernel_with_index_grid_strideIlZZZN2at6native17logspace_cuda_outERKN3c106ScalarES6_ldRNS1_6TensorEENKUlvE_clEvENKUlvE1_clEvEUllE_EEvT_T0_PN15function_traitsISD_E11result_typeE,comdat
	.globl	_ZN12_GLOBAL__N_141elementwise_kernel_with_index_grid_strideIlZZZN2at6native17logspace_cuda_outERKN3c106ScalarES6_ldRNS1_6TensorEENKUlvE_clEvENKUlvE1_clEvEUllE_EEvT_T0_PN15function_traitsISD_E11result_typeE ; -- Begin function _ZN12_GLOBAL__N_141elementwise_kernel_with_index_grid_strideIlZZZN2at6native17logspace_cuda_outERKN3c106ScalarES6_ldRNS1_6TensorEENKUlvE_clEvENKUlvE1_clEvEUllE_EEvT_T0_PN15function_traitsISD_E11result_typeE
	.p2align	8
	.type	_ZN12_GLOBAL__N_141elementwise_kernel_with_index_grid_strideIlZZZN2at6native17logspace_cuda_outERKN3c106ScalarES6_ldRNS1_6TensorEENKUlvE_clEvENKUlvE1_clEvEUllE_EEvT_T0_PN15function_traitsISD_E11result_typeE,@function
_ZN12_GLOBAL__N_141elementwise_kernel_with_index_grid_strideIlZZZN2at6native17logspace_cuda_outERKN3c106ScalarES6_ldRNS1_6TensorEENKUlvE_clEvENKUlvE1_clEvEUllE_EEvT_T0_PN15function_traitsISD_E11result_typeE: ; @_ZN12_GLOBAL__N_141elementwise_kernel_with_index_grid_strideIlZZZN2at6native17logspace_cuda_outERKN3c106ScalarES6_ldRNS1_6TensorEENKUlvE_clEvENKUlvE1_clEvEUllE_EEvT_T0_PN15function_traitsISD_E11result_typeE
; %bb.0:
	s_load_dword s3, s[0:1], 0x44
	s_load_dwordx2 s[8:9], s[0:1], 0x0
	s_add_u32 s10, s0, 56
	s_addc_u32 s11, s1, 0
	v_mov_b32_e32 v1, 0
	s_waitcnt lgkmcnt(0)
	s_and_b32 s3, s3, 0xffff
	v_mov_b32_e32 v2, s2
	v_mad_u64_u32 v[0:1], s[4:5], s3, v2, v[0:1]
	v_cmp_gt_i64_e32 vcc, s[8:9], v[0:1]
	s_and_saveexec_b64 s[4:5], vcc
	s_cbranch_execz .LBB27_7
; %bb.1:
	s_load_dwordx4 s[4:7], s[0:1], 0x28
	s_load_dword s2, s[10:11], 0x0
	s_load_dwordx2 s[12:13], s[0:1], 0x8
	s_load_dword s17, s[0:1], 0x10
	s_load_dwordx2 s[14:15], s[0:1], 0x18
	s_load_dword s16, s[0:1], 0x20
	s_waitcnt lgkmcnt(0)
	v_mov_b32_e32 v4, s6
	v_cvt_f32_i32_e32 v6, s13
	v_cvt_f32_i32_e32 v7, s12
	v_mov_b32_e32 v5, s7
	s_mul_hi_u32 s7, s3, s2
	s_mul_i32 s6, s3, s2
	v_not_b32_e32 v3, v1
	v_not_b32_e32 v2, v0
                                        ; implicit-def: $vgpr10
	v_cmp_eq_f32_e64 s[10:11], s17, 1.0
	v_lshl_add_u64 v[2:3], v[2:3], 0, s[14:15]
	v_lshl_add_u64 v[4:5], v[0:1], 2, v[4:5]
	s_lshl_b64 s[12:13], s[6:7], 2
	s_mov_b64 s[14:15], 0
	v_mov_b32_e32 v8, s17
	s_mov_b32 s17, 0x3f2aaaab
	v_mov_b32_e32 v9, 0x3e91f4c4
	s_mov_b32 s18, 0x3f317218
	s_movk_i32 s19, 0x204
	s_mov_b32 s20, 0x7f800000
	s_mov_b32 s21, 0x42b17218
	v_mov_b32_e32 v10, 0x37000000
	s_mov_b32 s22, 0x3fb8aa3b
	s_mov_b32 s23, 0xc2ce8ed0
	v_mov_b32_e32 v11, 0x7f800000
	s_brev_b32 s24, -2
	v_mov_b32_e32 v12, 0x7fc00000
	v_mov_b32_e32 v13, s7
	s_branch .LBB27_3
.LBB27_2:                               ;   in Loop: Header=BB27_3 Depth=1
	s_or_b64 exec, exec, s[0:1]
	v_cndmask_b32_e64 v28, v14, 1.0, s[10:11]
	v_cmp_neq_f32_e32 vcc, 0, v28
	v_cmp_neq_f32_e64 s[2:3], v28, |v28|
	v_lshl_add_u64 v[0:1], v[0:1], 0, s[6:7]
	v_cndmask_b32_e32 v29, 1.0, v8, vcc
	v_frexp_mant_f32_e64 v14, |v29|
	v_cmp_gt_f32_e32 vcc, s17, v14
	v_cmp_lt_f32_e64 s[26:27], |v29|, 1.0
	s_xor_b64 s[2:3], s[2:3], s[26:27]
	v_cndmask_b32_e64 v15, 1.0, 2.0, vcc
	v_mul_f32_e32 v14, v14, v15
	v_add_f32_e32 v17, 1.0, v14
	v_rcp_f32_e32 v22, v17
	v_add_f32_e32 v15, -1.0, v17
	v_sub_f32_e32 v19, v14, v15
	v_add_f32_e32 v15, -1.0, v14
	v_mul_f32_e32 v23, v15, v22
	v_mul_f32_e32 v16, v17, v23
	v_fma_f32 v18, v23, v17, -v16
	v_fmac_f32_e32 v18, v23, v19
	v_add_f32_e32 v14, v16, v18
	v_sub_f32_e32 v17, v15, v14
	v_pk_add_f32 v[20:21], v[14:15], v[16:17] neg_lo:[0,1] neg_hi:[0,1]
	v_mov_b32_e32 v19, v14
	v_pk_add_f32 v[14:15], v[20:21], v[18:19] neg_lo:[0,1] neg_hi:[0,1]
	v_cmp_class_f32_e64 s[26:27], v29, s19
	v_add_f32_e32 v14, v14, v15
	v_add_f32_e32 v14, v17, v14
	v_mul_f32_e32 v15, v22, v14
	v_add_f32_e32 v14, v23, v15
	v_sub_f32_e32 v16, v14, v23
	v_sub_f32_e32 v24, v15, v16
	v_mul_f32_e32 v15, v14, v14
	v_fma_f32 v17, v14, v14, -v15
	v_add_f32_e32 v16, v24, v24
	v_fmac_f32_e32 v17, v14, v16
	v_add_f32_e32 v16, v15, v17
	v_fmamk_f32 v18, v16, 0x3e76c4e1, v9
	v_fmaak_f32 v18, v16, v18, 0x3ecccdef
	v_sub_f32_e32 v15, v16, v15
	v_sub_f32_e32 v25, v17, v15
	v_mul_f32_e32 v15, v16, v18
	v_fma_f32 v17, v16, v18, -v15
	v_fmac_f32_e32 v17, v25, v18
	v_add_f32_e32 v18, v15, v17
	v_add_f32_e32 v19, 0x3f2aaaaa, v18
	v_sub_f32_e32 v15, v18, v15
	v_sub_f32_e32 v15, v17, v15
	v_add_f32_e32 v17, 0xbf2aaaaa, v19
	v_add_f32_e32 v15, 0x31739010, v15
	v_sub_f32_e32 v17, v18, v17
	v_pk_mul_f32 v[20:21], v[14:15], v[16:17]
	v_pk_add_f32 v[22:23], v[14:15], v[16:17]
	v_fma_f32 v18, v16, v14, -v20
	v_fmac_f32_e32 v18, v16, v24
	v_mov_b32_e32 v21, v23
	v_fmac_f32_e32 v18, v25, v14
	v_pk_add_f32 v[16:17], v[20:21], v[18:19]
	v_ldexp_f32 v26, v24, 1
	v_sub_f32_e32 v15, v16, v20
	v_sub_f32_e32 v15, v18, v15
	;; [unrolled: 1-line block ×3, first 2 shown]
	v_add_f32_e32 v22, v23, v18
	v_pk_mul_f32 v[18:19], v[16:17], v[16:17] op_sel:[0,1] op_sel_hi:[1,0]
	v_cvt_f64_f32_e64 v[20:21], |v29|
	v_frexp_exp_i32_f64_e32 v19, v[20:21]
	v_subbrev_co_u32_e32 v19, vcc, 0, v19, vcc
	v_cvt_f32_i32_e32 v19, v19
	v_fma_f32 v20, v16, v17, -v18
	v_fmac_f32_e32 v20, v16, v22
	v_fmac_f32_e32 v20, v15, v17
	v_mul_f32_e32 v16, 0x3f317218, v19
	v_fma_f32 v22, v19, s18, -v16
	v_fmac_f32_e32 v22, 0xb102e308, v19
	v_ldexp_f32 v23, v14, 1
	v_add_f32_e32 v17, v18, v20
	v_pk_add_f32 v[14:15], v[16:17], v[22:23]
	v_mov_b32_e32 v24, v17
	v_mov_b32_e32 v25, v15
	;; [unrolled: 1-line block ×3, first 2 shown]
	v_pk_add_f32 v[18:19], v[24:25], v[18:19] neg_lo:[0,1] neg_hi:[0,1]
	v_mov_b32_e32 v21, v17
	v_pk_add_f32 v[18:19], v[20:21], v[18:19] neg_lo:[0,1] neg_hi:[0,1]
	v_mov_b32_e32 v23, v14
	v_add_f32_e32 v17, v26, v18
	v_add_f32_e32 v17, v17, v19
	v_pk_add_f32 v[18:19], v[14:15], v[16:17] neg_lo:[0,1] neg_hi:[0,1]
	v_pk_add_f32 v[20:21], v[14:15], v[16:17]
	v_mov_b32_e32 v16, v17
	v_mov_b32_e32 v19, v21
	v_pk_add_f32 v[24:25], v[22:23], v[18:19] neg_lo:[0,1] neg_hi:[0,1]
	v_pk_add_f32 v[18:19], v[22:23], v[18:19]
	v_mov_b32_e32 v17, v14
	v_pk_add_f32 v[22:23], v[18:19], v[14:15] op_sel:[1,0] op_sel_hi:[0,1] neg_lo:[0,1] neg_hi:[0,1]
	v_pk_add_f32 v[26:27], v[20:21], v[22:23] op_sel_hi:[1,0] neg_lo:[0,1] neg_hi:[0,1]
	v_mov_b32_e32 v20, v21
	v_mov_b32_e32 v21, v19
	v_pk_mov_b32 v[22:23], v[14:15], v[22:23] op_sel:[1,0]
	v_mov_b32_e32 v26, v24
	v_pk_add_f32 v[20:21], v[20:21], v[22:23] neg_lo:[0,1] neg_hi:[0,1]
	v_mov_b32_e32 v25, v19
	v_pk_add_f32 v[14:15], v[16:17], v[20:21] neg_lo:[0,1] neg_hi:[0,1]
	s_nop 0
	v_pk_add_f32 v[16:17], v[26:27], v[14:15]
	s_nop 0
	v_pk_add_f32 v[20:21], v[16:17], v[16:17] op_sel:[0,1] op_sel_hi:[1,0]
	s_nop 0
	v_pk_add_f32 v[18:19], v[18:19], v[20:21] op_sel:[1,0] op_sel_hi:[0,1]
	v_mov_b32_e32 v17, v18
	v_pk_add_f32 v[22:23], v[16:17], v[24:25] neg_lo:[0,1] neg_hi:[0,1]
	v_mov_b32_e32 v15, v20
	v_sub_f32_e32 v16, v16, v22
	v_pk_add_f32 v[14:15], v[14:15], v[22:23] neg_lo:[0,1] neg_hi:[0,1]
	v_sub_f32_e32 v16, v24, v16
	v_add_f32_e32 v14, v14, v16
	v_add_f32_e32 v14, v14, v15
	;; [unrolled: 1-line block ×3, first 2 shown]
	v_sub_f32_e32 v16, v15, v18
	v_sub_f32_e32 v14, v14, v16
	v_mul_f32_e32 v16, v28, v15
	v_fma_f32 v15, v28, v15, -v16
	v_fmac_f32_e32 v15, v28, v14
	v_add_f32_e32 v14, v16, v15
	v_cmp_class_f32_e64 vcc, v16, s19
	v_sub_f32_e32 v17, v14, v16
	v_sub_f32_e32 v15, v15, v17
	v_cndmask_b32_e32 v14, v14, v16, vcc
	v_cmp_eq_f32_e32 vcc, s21, v14
	s_nop 1
	v_cndmask_b32_e32 v16, 0, v10, vcc
	v_sub_f32_e32 v17, v14, v16
	v_mul_f32_e32 v18, 0x3fb8aa3b, v17
	v_fma_f32 v19, v17, s22, -v18
	v_rndne_f32_e32 v20, v18
	v_fmac_f32_e32 v19, 0x32a5705f, v17
	v_sub_f32_e32 v18, v18, v20
	v_add_f32_e32 v18, v18, v19
	v_exp_f32_e32 v18, v18
	v_cvt_i32_f32_e32 v19, v20
	v_cmp_neq_f32_e64 vcc, |v14|, s20
	s_nop 1
	v_cndmask_b32_e32 v14, 0, v15, vcc
	v_ldexp_f32 v15, v18, v19
	v_cmp_ngt_f32_e32 vcc, s23, v17
	v_add_f32_e32 v14, v16, v14
	s_nop 0
	v_cndmask_b32_e32 v15, 0, v15, vcc
	v_cmp_nlt_f32_e32 vcc, s21, v17
	s_nop 1
	v_cndmask_b32_e32 v15, v11, v15, vcc
	v_fma_f32 v14, v15, v14, v15
	v_cmp_class_f32_e64 vcc, v15, s19
	s_nop 1
	v_cndmask_b32_e32 v14, v14, v15, vcc
	v_trunc_f32_e32 v15, v28
	v_cmp_eq_f32_e32 vcc, v15, v28
	v_mul_f32_e32 v15, 0.5, v28
	v_trunc_f32_e32 v16, v15
	v_cmp_neq_f32_e64 s[0:1], v16, v15
	s_and_b64 s[0:1], vcc, s[0:1]
	s_nop 0
	v_cndmask_b32_e64 v15, 1.0, v29, s[0:1]
	v_bfi_b32 v14, s24, v14, v15
	v_cndmask_b32_e32 v15, v12, v14, vcc
	v_cmp_gt_f32_e32 vcc, 0, v29
	v_cndmask_b32_e64 v16, 0, v29, s[0:1]
	s_nop 0
	v_cndmask_b32_e32 v14, v14, v15, vcc
	v_cndmask_b32_e64 v15, v11, 0, s[2:3]
	v_cmp_neq_f32_e64 vcc, |v29|, 1.0
	v_cmp_gt_f32_e64 s[2:3], 0, v28
	s_nop 0
	v_cndmask_b32_e32 v15, 1.0, v15, vcc
	v_cmp_class_f32_e64 vcc, v28, s19
	s_nop 1
	v_cndmask_b32_e32 v14, v14, v15, vcc
	v_cmp_eq_f32_e32 vcc, 0, v29
	s_xor_b64 s[2:3], s[2:3], vcc
	v_cndmask_b32_e64 v15, v11, 0, s[2:3]
	v_bfi_b32 v15, s24, v15, v16
	s_or_b64 vcc, vcc, s[26:27]
	v_cndmask_b32_e32 v14, v14, v15, vcc
	v_cmp_o_f32_e32 vcc, v29, v28
	s_nop 1
	v_cndmask_b32_e32 v14, v12, v14, vcc
	v_cvt_i32_f32_e32 v14, v14
	v_subrev_co_u32_e32 v2, vcc, s6, v2
	global_store_dword v[4:5], v14, off
	s_nop 0
	v_subb_co_u32_e32 v3, vcc, v3, v13, vcc
	v_cmp_le_i64_e32 vcc, s[8:9], v[0:1]
	s_or_b64 s[14:15], vcc, s[14:15]
	v_lshl_add_u64 v[4:5], v[4:5], 0, s[12:13]
	s_andn2_b64 exec, exec, s[14:15]
	s_cbranch_execz .LBB27_7
.LBB27_3:                               ; =>This Inner Loop Header: Depth=1
	v_cmp_le_i64_e32 vcc, s[4:5], v[0:1]
                                        ; implicit-def: $vgpr14
	s_and_saveexec_b64 s[0:1], vcc
	s_xor_b64 s[0:1], exec, s[0:1]
	s_cbranch_execz .LBB27_5
; %bb.4:                                ;   in Loop: Header=BB27_3 Depth=1
	v_xor_b32_e32 v15, v2, v3
	v_ffbh_i32_e32 v14, v3
	v_ashrrev_i32_e32 v15, 31, v15
	v_add_u32_e32 v14, -1, v14
	v_add_u32_e32 v15, 32, v15
	v_min_u32_e32 v16, v14, v15
	v_lshlrev_b64 v[14:15], v16, v[2:3]
	v_min_u32_e32 v14, 1, v14
	v_or_b32_e32 v14, v15, v14
	v_cvt_f32_i32_e32 v14, v14
	v_sub_u32_e32 v15, 32, v16
	v_ldexp_f32 v14, v14, v15
	v_fma_f32 v14, -s16, v14, v6
.LBB27_5:                               ;   in Loop: Header=BB27_3 Depth=1
	s_andn2_saveexec_b64 s[0:1], s[0:1]
	s_cbranch_execz .LBB27_2
; %bb.6:                                ;   in Loop: Header=BB27_3 Depth=1
	v_ffbh_u32_e32 v14, v1
	v_min_u32_e32 v16, 32, v14
	v_lshlrev_b64 v[14:15], v16, v[0:1]
	v_min_u32_e32 v14, 1, v14
	v_or_b32_e32 v14, v15, v14
	v_cvt_f32_u32_e32 v14, v14
	v_sub_u32_e32 v15, 32, v16
	v_ldexp_f32 v14, v14, v15
	v_fma_f32 v14, s16, v14, v7
	s_branch .LBB27_2
.LBB27_7:
	s_endpgm
	.section	.rodata,"a",@progbits
	.p2align	6, 0x0
	.amdhsa_kernel _ZN12_GLOBAL__N_141elementwise_kernel_with_index_grid_strideIlZZZN2at6native17logspace_cuda_outERKN3c106ScalarES6_ldRNS1_6TensorEENKUlvE_clEvENKUlvE1_clEvEUllE_EEvT_T0_PN15function_traitsISD_E11result_typeE
		.amdhsa_group_segment_fixed_size 0
		.amdhsa_private_segment_fixed_size 0
		.amdhsa_kernarg_size 312
		.amdhsa_user_sgpr_count 2
		.amdhsa_user_sgpr_dispatch_ptr 0
		.amdhsa_user_sgpr_queue_ptr 0
		.amdhsa_user_sgpr_kernarg_segment_ptr 1
		.amdhsa_user_sgpr_dispatch_id 0
		.amdhsa_user_sgpr_kernarg_preload_length 0
		.amdhsa_user_sgpr_kernarg_preload_offset 0
		.amdhsa_user_sgpr_private_segment_size 0
		.amdhsa_uses_dynamic_stack 0
		.amdhsa_enable_private_segment 0
		.amdhsa_system_sgpr_workgroup_id_x 1
		.amdhsa_system_sgpr_workgroup_id_y 0
		.amdhsa_system_sgpr_workgroup_id_z 0
		.amdhsa_system_sgpr_workgroup_info 0
		.amdhsa_system_vgpr_workitem_id 0
		.amdhsa_next_free_vgpr 30
		.amdhsa_next_free_sgpr 28
		.amdhsa_accum_offset 32
		.amdhsa_reserve_vcc 1
		.amdhsa_float_round_mode_32 0
		.amdhsa_float_round_mode_16_64 0
		.amdhsa_float_denorm_mode_32 3
		.amdhsa_float_denorm_mode_16_64 3
		.amdhsa_dx10_clamp 1
		.amdhsa_ieee_mode 1
		.amdhsa_fp16_overflow 0
		.amdhsa_tg_split 0
		.amdhsa_exception_fp_ieee_invalid_op 0
		.amdhsa_exception_fp_denorm_src 0
		.amdhsa_exception_fp_ieee_div_zero 0
		.amdhsa_exception_fp_ieee_overflow 0
		.amdhsa_exception_fp_ieee_underflow 0
		.amdhsa_exception_fp_ieee_inexact 0
		.amdhsa_exception_int_div_zero 0
	.end_amdhsa_kernel
	.section	.text._ZN12_GLOBAL__N_141elementwise_kernel_with_index_grid_strideIlZZZN2at6native17logspace_cuda_outERKN3c106ScalarES6_ldRNS1_6TensorEENKUlvE_clEvENKUlvE1_clEvEUllE_EEvT_T0_PN15function_traitsISD_E11result_typeE,"axG",@progbits,_ZN12_GLOBAL__N_141elementwise_kernel_with_index_grid_strideIlZZZN2at6native17logspace_cuda_outERKN3c106ScalarES6_ldRNS1_6TensorEENKUlvE_clEvENKUlvE1_clEvEUllE_EEvT_T0_PN15function_traitsISD_E11result_typeE,comdat
.Lfunc_end27:
	.size	_ZN12_GLOBAL__N_141elementwise_kernel_with_index_grid_strideIlZZZN2at6native17logspace_cuda_outERKN3c106ScalarES6_ldRNS1_6TensorEENKUlvE_clEvENKUlvE1_clEvEUllE_EEvT_T0_PN15function_traitsISD_E11result_typeE, .Lfunc_end27-_ZN12_GLOBAL__N_141elementwise_kernel_with_index_grid_strideIlZZZN2at6native17logspace_cuda_outERKN3c106ScalarES6_ldRNS1_6TensorEENKUlvE_clEvENKUlvE1_clEvEUllE_EEvT_T0_PN15function_traitsISD_E11result_typeE
                                        ; -- End function
	.set _ZN12_GLOBAL__N_141elementwise_kernel_with_index_grid_strideIlZZZN2at6native17logspace_cuda_outERKN3c106ScalarES6_ldRNS1_6TensorEENKUlvE_clEvENKUlvE1_clEvEUllE_EEvT_T0_PN15function_traitsISD_E11result_typeE.num_vgpr, 30
	.set _ZN12_GLOBAL__N_141elementwise_kernel_with_index_grid_strideIlZZZN2at6native17logspace_cuda_outERKN3c106ScalarES6_ldRNS1_6TensorEENKUlvE_clEvENKUlvE1_clEvEUllE_EEvT_T0_PN15function_traitsISD_E11result_typeE.num_agpr, 0
	.set _ZN12_GLOBAL__N_141elementwise_kernel_with_index_grid_strideIlZZZN2at6native17logspace_cuda_outERKN3c106ScalarES6_ldRNS1_6TensorEENKUlvE_clEvENKUlvE1_clEvEUllE_EEvT_T0_PN15function_traitsISD_E11result_typeE.numbered_sgpr, 28
	.set _ZN12_GLOBAL__N_141elementwise_kernel_with_index_grid_strideIlZZZN2at6native17logspace_cuda_outERKN3c106ScalarES6_ldRNS1_6TensorEENKUlvE_clEvENKUlvE1_clEvEUllE_EEvT_T0_PN15function_traitsISD_E11result_typeE.num_named_barrier, 0
	.set _ZN12_GLOBAL__N_141elementwise_kernel_with_index_grid_strideIlZZZN2at6native17logspace_cuda_outERKN3c106ScalarES6_ldRNS1_6TensorEENKUlvE_clEvENKUlvE1_clEvEUllE_EEvT_T0_PN15function_traitsISD_E11result_typeE.private_seg_size, 0
	.set _ZN12_GLOBAL__N_141elementwise_kernel_with_index_grid_strideIlZZZN2at6native17logspace_cuda_outERKN3c106ScalarES6_ldRNS1_6TensorEENKUlvE_clEvENKUlvE1_clEvEUllE_EEvT_T0_PN15function_traitsISD_E11result_typeE.uses_vcc, 1
	.set _ZN12_GLOBAL__N_141elementwise_kernel_with_index_grid_strideIlZZZN2at6native17logspace_cuda_outERKN3c106ScalarES6_ldRNS1_6TensorEENKUlvE_clEvENKUlvE1_clEvEUllE_EEvT_T0_PN15function_traitsISD_E11result_typeE.uses_flat_scratch, 0
	.set _ZN12_GLOBAL__N_141elementwise_kernel_with_index_grid_strideIlZZZN2at6native17logspace_cuda_outERKN3c106ScalarES6_ldRNS1_6TensorEENKUlvE_clEvENKUlvE1_clEvEUllE_EEvT_T0_PN15function_traitsISD_E11result_typeE.has_dyn_sized_stack, 0
	.set _ZN12_GLOBAL__N_141elementwise_kernel_with_index_grid_strideIlZZZN2at6native17logspace_cuda_outERKN3c106ScalarES6_ldRNS1_6TensorEENKUlvE_clEvENKUlvE1_clEvEUllE_EEvT_T0_PN15function_traitsISD_E11result_typeE.has_recursion, 0
	.set _ZN12_GLOBAL__N_141elementwise_kernel_with_index_grid_strideIlZZZN2at6native17logspace_cuda_outERKN3c106ScalarES6_ldRNS1_6TensorEENKUlvE_clEvENKUlvE1_clEvEUllE_EEvT_T0_PN15function_traitsISD_E11result_typeE.has_indirect_call, 0
	.section	.AMDGPU.csdata,"",@progbits
; Kernel info:
; codeLenInByte = 1476
; TotalNumSgprs: 34
; NumVgprs: 30
; NumAgprs: 0
; TotalNumVgprs: 30
; ScratchSize: 0
; MemoryBound: 0
; FloatMode: 240
; IeeeMode: 1
; LDSByteSize: 0 bytes/workgroup (compile time only)
; SGPRBlocks: 4
; VGPRBlocks: 3
; NumSGPRsForWavesPerEU: 34
; NumVGPRsForWavesPerEU: 30
; AccumOffset: 32
; Occupancy: 8
; WaveLimiterHint : 0
; COMPUTE_PGM_RSRC2:SCRATCH_EN: 0
; COMPUTE_PGM_RSRC2:USER_SGPR: 2
; COMPUTE_PGM_RSRC2:TRAP_HANDLER: 0
; COMPUTE_PGM_RSRC2:TGID_X_EN: 1
; COMPUTE_PGM_RSRC2:TGID_Y_EN: 0
; COMPUTE_PGM_RSRC2:TGID_Z_EN: 0
; COMPUTE_PGM_RSRC2:TIDIG_COMP_CNT: 0
; COMPUTE_PGM_RSRC3_GFX90A:ACCUM_OFFSET: 7
; COMPUTE_PGM_RSRC3_GFX90A:TG_SPLIT: 0
	.section	.text._ZN12_GLOBAL__N_141elementwise_kernel_with_index_grid_strideIiZZZN2at6native17logspace_cuda_outERKN3c106ScalarES6_ldRNS1_6TensorEENKUlvE_clEvENKUlvE2_clEvEUllE_EEvT_T0_PN15function_traitsISD_E11result_typeE,"axG",@progbits,_ZN12_GLOBAL__N_141elementwise_kernel_with_index_grid_strideIiZZZN2at6native17logspace_cuda_outERKN3c106ScalarES6_ldRNS1_6TensorEENKUlvE_clEvENKUlvE2_clEvEUllE_EEvT_T0_PN15function_traitsISD_E11result_typeE,comdat
	.globl	_ZN12_GLOBAL__N_141elementwise_kernel_with_index_grid_strideIiZZZN2at6native17logspace_cuda_outERKN3c106ScalarES6_ldRNS1_6TensorEENKUlvE_clEvENKUlvE2_clEvEUllE_EEvT_T0_PN15function_traitsISD_E11result_typeE ; -- Begin function _ZN12_GLOBAL__N_141elementwise_kernel_with_index_grid_strideIiZZZN2at6native17logspace_cuda_outERKN3c106ScalarES6_ldRNS1_6TensorEENKUlvE_clEvENKUlvE2_clEvEUllE_EEvT_T0_PN15function_traitsISD_E11result_typeE
	.p2align	8
	.type	_ZN12_GLOBAL__N_141elementwise_kernel_with_index_grid_strideIiZZZN2at6native17logspace_cuda_outERKN3c106ScalarES6_ldRNS1_6TensorEENKUlvE_clEvENKUlvE2_clEvEUllE_EEvT_T0_PN15function_traitsISD_E11result_typeE,@function
_ZN12_GLOBAL__N_141elementwise_kernel_with_index_grid_strideIiZZZN2at6native17logspace_cuda_outERKN3c106ScalarES6_ldRNS1_6TensorEENKUlvE_clEvENKUlvE2_clEvEUllE_EEvT_T0_PN15function_traitsISD_E11result_typeE: ; @_ZN12_GLOBAL__N_141elementwise_kernel_with_index_grid_strideIiZZZN2at6native17logspace_cuda_outERKN3c106ScalarES6_ldRNS1_6TensorEENKUlvE_clEvENKUlvE2_clEvEUllE_EEvT_T0_PN15function_traitsISD_E11result_typeE
; %bb.0:
	s_load_dword s3, s[0:1], 0x4c
	s_load_dword s14, s[0:1], 0x0
	s_add_u32 s8, s0, 64
	s_addc_u32 s9, s1, 0
	s_waitcnt lgkmcnt(0)
	s_and_b32 s3, s3, 0xffff
	s_mul_i32 s2, s2, s3
	v_add_u32_e32 v0, s2, v0
	v_cmp_gt_i32_e32 vcc, s14, v0
	s_and_saveexec_b64 s[4:5], vcc
	s_cbranch_execz .LBB28_7
; %bb.1:
	s_load_dwordx4 s[4:7], s[0:1], 0x30
	s_load_dwordx4 s[16:19], s[0:1], 0x8
	s_load_dword s2, s[0:1], 0x18
	s_load_dword s12, s[8:9], 0x0
	s_load_dwordx2 s[10:11], s[0:1], 0x20
	s_load_dword s15, s[0:1], 0x28
	s_waitcnt lgkmcnt(0)
	s_xor_b32 s1, s18, s19
	s_flbit_i32 s0, s19
	s_ashr_i32 s1, s1, 31
	s_add_i32 s0, s0, -1
	s_add_i32 s1, s1, 32
	v_mov_b32_e32 v4, s6
	s_mul_i32 s6, s12, s3
	s_min_u32 s3, s0, s1
	s_lshl_b64 s[0:1], s[18:19], s3
	s_min_u32 s0, s0, 1
	s_or_b32 s0, s1, s0
	s_xor_b32 s1, s16, s17
	v_cvt_f32_i32_e32 v1, s0
	s_flbit_i32 s0, s17
	s_ashr_i32 s1, s1, 31
	s_add_i32 s0, s0, -1
	s_add_i32 s1, s1, 32
	v_mov_b32_e32 v5, s7
	s_min_u32 s7, s0, s1
	s_lshl_b64 s[0:1], s[16:17], s7
	s_min_u32 s0, s0, 1
	s_or_b32 s0, s1, s0
	v_cvt_f32_i32_e32 v2, s0
	s_sub_i32 s0, 32, s3
	v_ldexp_f32 v6, v1, s0
	s_sub_i32 s0, 32, s7
	v_ashrrev_i32_e32 v1, 31, v0
	v_ldexp_f32 v7, v2, s0
	v_not_b32_e32 v3, v1
	v_not_b32_e32 v2, v0
	s_ashr_i32 s7, s6, 31
                                        ; implicit-def: $vgpr10
	v_cmp_eq_f32_e64 s[8:9], s2, 1.0
	v_lshl_add_u64 v[2:3], v[2:3], 0, s[10:11]
	v_lshl_add_u64 v[4:5], v[0:1], 3, v[4:5]
	s_lshl_b64 s[10:11], s[6:7], 3
	s_mov_b64 s[12:13], 0
	v_mov_b32_e32 v8, s2
	s_mov_b32 s16, 0x3f2aaaab
	v_mov_b32_e32 v9, 0x3e91f4c4
	s_mov_b32 s17, 0x3f317218
	s_movk_i32 s18, 0x204
	s_mov_b32 s19, 0x7f800000
	s_mov_b32 s20, 0x42b17218
	v_mov_b32_e32 v10, 0x37000000
	s_mov_b32 s21, 0x3fb8aa3b
	s_mov_b32 s22, 0xc2ce8ed0
	v_mov_b32_e32 v11, 0x7f800000
	s_brev_b32 s23, -2
	v_mov_b32_e32 v12, 0x7fc00000
	s_mov_b32 s24, 0x2f800000
	s_mov_b32 s25, 0xcf800000
	v_mov_b32_e32 v13, s7
	s_branch .LBB28_3
.LBB28_2:                               ;   in Loop: Header=BB28_3 Depth=1
	s_or_b64 exec, exec, s[0:1]
	v_cndmask_b32_e64 v28, v14, 1.0, s[8:9]
	v_cmp_neq_f32_e32 vcc, 0, v28
	v_cmp_neq_f32_e64 s[2:3], v28, |v28|
	v_lshl_add_u64 v[0:1], v[0:1], 0, s[6:7]
	v_cndmask_b32_e32 v29, 1.0, v8, vcc
	v_frexp_mant_f32_e64 v14, |v29|
	v_cmp_gt_f32_e32 vcc, s16, v14
	v_cmp_lt_f32_e64 s[26:27], |v29|, 1.0
	s_xor_b64 s[2:3], s[2:3], s[26:27]
	v_cndmask_b32_e64 v15, 1.0, 2.0, vcc
	v_mul_f32_e32 v14, v14, v15
	v_add_f32_e32 v17, 1.0, v14
	v_rcp_f32_e32 v22, v17
	v_add_f32_e32 v15, -1.0, v17
	v_sub_f32_e32 v19, v14, v15
	v_add_f32_e32 v15, -1.0, v14
	v_mul_f32_e32 v23, v15, v22
	v_mul_f32_e32 v16, v17, v23
	v_fma_f32 v18, v23, v17, -v16
	v_fmac_f32_e32 v18, v23, v19
	v_add_f32_e32 v14, v16, v18
	v_sub_f32_e32 v17, v15, v14
	v_pk_add_f32 v[20:21], v[14:15], v[16:17] neg_lo:[0,1] neg_hi:[0,1]
	v_mov_b32_e32 v19, v14
	v_pk_add_f32 v[14:15], v[20:21], v[18:19] neg_lo:[0,1] neg_hi:[0,1]
	v_cmp_class_f32_e64 s[26:27], v29, s18
	v_add_f32_e32 v14, v14, v15
	v_add_f32_e32 v14, v17, v14
	v_mul_f32_e32 v15, v22, v14
	v_add_f32_e32 v14, v23, v15
	v_sub_f32_e32 v16, v14, v23
	v_sub_f32_e32 v24, v15, v16
	v_mul_f32_e32 v15, v14, v14
	v_fma_f32 v17, v14, v14, -v15
	v_add_f32_e32 v16, v24, v24
	v_fmac_f32_e32 v17, v14, v16
	v_add_f32_e32 v16, v15, v17
	v_fmamk_f32 v18, v16, 0x3e76c4e1, v9
	v_fmaak_f32 v18, v16, v18, 0x3ecccdef
	v_sub_f32_e32 v15, v16, v15
	v_sub_f32_e32 v25, v17, v15
	v_mul_f32_e32 v15, v16, v18
	v_fma_f32 v17, v16, v18, -v15
	v_fmac_f32_e32 v17, v25, v18
	v_add_f32_e32 v18, v15, v17
	v_add_f32_e32 v19, 0x3f2aaaaa, v18
	v_sub_f32_e32 v15, v18, v15
	v_sub_f32_e32 v15, v17, v15
	v_add_f32_e32 v17, 0xbf2aaaaa, v19
	v_add_f32_e32 v15, 0x31739010, v15
	v_sub_f32_e32 v17, v18, v17
	v_pk_mul_f32 v[20:21], v[14:15], v[16:17]
	v_pk_add_f32 v[22:23], v[14:15], v[16:17]
	v_fma_f32 v18, v16, v14, -v20
	v_fmac_f32_e32 v18, v16, v24
	v_mov_b32_e32 v21, v23
	v_fmac_f32_e32 v18, v25, v14
	v_pk_add_f32 v[16:17], v[20:21], v[18:19]
	v_ldexp_f32 v26, v24, 1
	v_sub_f32_e32 v15, v16, v20
	v_sub_f32_e32 v15, v18, v15
	;; [unrolled: 1-line block ×3, first 2 shown]
	v_add_f32_e32 v22, v23, v18
	v_pk_mul_f32 v[18:19], v[16:17], v[16:17] op_sel:[0,1] op_sel_hi:[1,0]
	v_cvt_f64_f32_e64 v[20:21], |v29|
	v_frexp_exp_i32_f64_e32 v19, v[20:21]
	v_subbrev_co_u32_e32 v19, vcc, 0, v19, vcc
	v_cvt_f32_i32_e32 v19, v19
	v_fma_f32 v20, v16, v17, -v18
	v_fmac_f32_e32 v20, v16, v22
	v_fmac_f32_e32 v20, v15, v17
	v_mul_f32_e32 v16, 0x3f317218, v19
	v_fma_f32 v22, v19, s17, -v16
	v_fmac_f32_e32 v22, 0xb102e308, v19
	v_ldexp_f32 v23, v14, 1
	v_add_f32_e32 v17, v18, v20
	v_pk_add_f32 v[14:15], v[16:17], v[22:23]
	v_mov_b32_e32 v24, v17
	v_mov_b32_e32 v25, v15
	;; [unrolled: 1-line block ×3, first 2 shown]
	v_pk_add_f32 v[18:19], v[24:25], v[18:19] neg_lo:[0,1] neg_hi:[0,1]
	v_mov_b32_e32 v21, v17
	v_pk_add_f32 v[18:19], v[20:21], v[18:19] neg_lo:[0,1] neg_hi:[0,1]
	v_mov_b32_e32 v23, v14
	v_add_f32_e32 v17, v26, v18
	v_add_f32_e32 v17, v17, v19
	v_pk_add_f32 v[18:19], v[14:15], v[16:17] neg_lo:[0,1] neg_hi:[0,1]
	v_pk_add_f32 v[20:21], v[14:15], v[16:17]
	v_mov_b32_e32 v16, v17
	v_mov_b32_e32 v19, v21
	v_pk_add_f32 v[24:25], v[22:23], v[18:19] neg_lo:[0,1] neg_hi:[0,1]
	v_pk_add_f32 v[18:19], v[22:23], v[18:19]
	v_mov_b32_e32 v17, v14
	v_pk_add_f32 v[22:23], v[18:19], v[14:15] op_sel:[1,0] op_sel_hi:[0,1] neg_lo:[0,1] neg_hi:[0,1]
	v_pk_add_f32 v[26:27], v[20:21], v[22:23] op_sel_hi:[1,0] neg_lo:[0,1] neg_hi:[0,1]
	v_mov_b32_e32 v20, v21
	v_mov_b32_e32 v21, v19
	v_pk_mov_b32 v[22:23], v[14:15], v[22:23] op_sel:[1,0]
	v_mov_b32_e32 v26, v24
	v_pk_add_f32 v[20:21], v[20:21], v[22:23] neg_lo:[0,1] neg_hi:[0,1]
	v_mov_b32_e32 v25, v19
	v_pk_add_f32 v[14:15], v[16:17], v[20:21] neg_lo:[0,1] neg_hi:[0,1]
	s_nop 0
	v_pk_add_f32 v[16:17], v[26:27], v[14:15]
	s_nop 0
	v_pk_add_f32 v[20:21], v[16:17], v[16:17] op_sel:[0,1] op_sel_hi:[1,0]
	s_nop 0
	v_pk_add_f32 v[18:19], v[18:19], v[20:21] op_sel:[1,0] op_sel_hi:[0,1]
	v_mov_b32_e32 v17, v18
	v_pk_add_f32 v[22:23], v[16:17], v[24:25] neg_lo:[0,1] neg_hi:[0,1]
	v_mov_b32_e32 v15, v20
	v_sub_f32_e32 v16, v16, v22
	v_pk_add_f32 v[14:15], v[14:15], v[22:23] neg_lo:[0,1] neg_hi:[0,1]
	v_sub_f32_e32 v16, v24, v16
	v_add_f32_e32 v14, v14, v16
	v_add_f32_e32 v14, v14, v15
	;; [unrolled: 1-line block ×3, first 2 shown]
	v_sub_f32_e32 v16, v15, v18
	v_sub_f32_e32 v14, v14, v16
	v_mul_f32_e32 v16, v28, v15
	v_fma_f32 v15, v28, v15, -v16
	v_fmac_f32_e32 v15, v28, v14
	v_add_f32_e32 v14, v16, v15
	v_cmp_class_f32_e64 vcc, v16, s18
	v_sub_f32_e32 v17, v14, v16
	v_sub_f32_e32 v15, v15, v17
	v_cndmask_b32_e32 v14, v14, v16, vcc
	v_cmp_eq_f32_e32 vcc, s20, v14
	s_nop 1
	v_cndmask_b32_e32 v16, 0, v10, vcc
	v_sub_f32_e32 v17, v14, v16
	v_mul_f32_e32 v18, 0x3fb8aa3b, v17
	v_fma_f32 v19, v17, s21, -v18
	v_rndne_f32_e32 v20, v18
	v_fmac_f32_e32 v19, 0x32a5705f, v17
	v_sub_f32_e32 v18, v18, v20
	v_add_f32_e32 v18, v18, v19
	v_exp_f32_e32 v18, v18
	v_cvt_i32_f32_e32 v19, v20
	v_cmp_neq_f32_e64 vcc, |v14|, s19
	s_nop 1
	v_cndmask_b32_e32 v14, 0, v15, vcc
	v_ldexp_f32 v15, v18, v19
	v_cmp_ngt_f32_e32 vcc, s22, v17
	v_add_f32_e32 v14, v16, v14
	s_nop 0
	v_cndmask_b32_e32 v15, 0, v15, vcc
	v_cmp_nlt_f32_e32 vcc, s20, v17
	s_nop 1
	v_cndmask_b32_e32 v15, v11, v15, vcc
	v_fma_f32 v14, v15, v14, v15
	v_cmp_class_f32_e64 vcc, v15, s18
	s_nop 1
	v_cndmask_b32_e32 v14, v14, v15, vcc
	v_trunc_f32_e32 v15, v28
	v_cmp_eq_f32_e32 vcc, v15, v28
	v_mul_f32_e32 v15, 0.5, v28
	v_trunc_f32_e32 v16, v15
	v_cmp_neq_f32_e64 s[0:1], v16, v15
	s_and_b64 s[0:1], vcc, s[0:1]
	s_nop 0
	v_cndmask_b32_e64 v15, 1.0, v29, s[0:1]
	v_bfi_b32 v14, s23, v14, v15
	v_cndmask_b32_e32 v15, v12, v14, vcc
	v_cmp_gt_f32_e32 vcc, 0, v29
	v_cndmask_b32_e64 v16, 0, v29, s[0:1]
	s_nop 0
	v_cndmask_b32_e32 v14, v14, v15, vcc
	v_cndmask_b32_e64 v15, v11, 0, s[2:3]
	v_cmp_neq_f32_e64 vcc, |v29|, 1.0
	v_cmp_gt_f32_e64 s[2:3], 0, v28
	s_nop 0
	v_cndmask_b32_e32 v15, 1.0, v15, vcc
	v_cmp_class_f32_e64 vcc, v28, s18
	s_nop 1
	v_cndmask_b32_e32 v14, v14, v15, vcc
	v_cmp_eq_f32_e32 vcc, 0, v29
	s_xor_b64 s[2:3], s[2:3], vcc
	v_cndmask_b32_e64 v15, v11, 0, s[2:3]
	v_bfi_b32 v15, s23, v15, v16
	s_or_b64 vcc, vcc, s[26:27]
	v_cndmask_b32_e32 v14, v14, v15, vcc
	v_cmp_o_f32_e32 vcc, v29, v28
	s_nop 1
	v_cndmask_b32_e32 v14, v12, v14, vcc
	v_trunc_f32_e32 v14, v14
	v_mul_f32_e64 v15, |v14|, s24
	v_floor_f32_e32 v15, v15
	v_fma_f32 v16, v15, s25, |v14|
	v_cvt_u32_f32_e32 v16, v16
	v_cvt_u32_f32_e32 v15, v15
	v_ashrrev_i32_e32 v17, 31, v14
	v_xor_b32_e32 v14, v16, v17
	v_xor_b32_e32 v15, v15, v17
	v_sub_co_u32_e32 v14, vcc, v14, v17
	s_nop 1
	v_subb_co_u32_e32 v15, vcc, v15, v17, vcc
	v_subrev_co_u32_e32 v2, vcc, s6, v2
	global_store_dwordx2 v[4:5], v[14:15], off
	s_nop 0
	v_subb_co_u32_e32 v3, vcc, v3, v13, vcc
	v_cmp_le_i32_e32 vcc, s14, v0
	s_or_b64 s[12:13], vcc, s[12:13]
	v_lshl_add_u64 v[4:5], v[4:5], 0, s[10:11]
	s_andn2_b64 exec, exec, s[12:13]
	s_cbranch_execz .LBB28_7
.LBB28_3:                               ; =>This Inner Loop Header: Depth=1
	v_cmp_le_i64_e32 vcc, s[4:5], v[0:1]
                                        ; implicit-def: $vgpr14
	s_and_saveexec_b64 s[0:1], vcc
	s_xor_b64 s[0:1], exec, s[0:1]
	s_cbranch_execz .LBB28_5
; %bb.4:                                ;   in Loop: Header=BB28_3 Depth=1
	v_xor_b32_e32 v15, v2, v3
	v_ffbh_i32_e32 v14, v3
	v_ashrrev_i32_e32 v15, 31, v15
	v_add_u32_e32 v14, -1, v14
	v_add_u32_e32 v15, 32, v15
	v_min_u32_e32 v16, v14, v15
	v_lshlrev_b64 v[14:15], v16, v[2:3]
	v_min_u32_e32 v14, 1, v14
	v_or_b32_e32 v14, v15, v14
	v_cvt_f32_i32_e32 v14, v14
	v_sub_u32_e32 v15, 32, v16
	v_ldexp_f32 v14, v14, v15
	v_fma_f32 v14, -s15, v14, v6
.LBB28_5:                               ;   in Loop: Header=BB28_3 Depth=1
	s_andn2_saveexec_b64 s[0:1], s[0:1]
	s_cbranch_execz .LBB28_2
; %bb.6:                                ;   in Loop: Header=BB28_3 Depth=1
	v_cvt_f32_i32_e32 v14, v0
	v_fma_f32 v14, s15, v14, v7
	s_branch .LBB28_2
.LBB28_7:
	s_endpgm
	.section	.rodata,"a",@progbits
	.p2align	6, 0x0
	.amdhsa_kernel _ZN12_GLOBAL__N_141elementwise_kernel_with_index_grid_strideIiZZZN2at6native17logspace_cuda_outERKN3c106ScalarES6_ldRNS1_6TensorEENKUlvE_clEvENKUlvE2_clEvEUllE_EEvT_T0_PN15function_traitsISD_E11result_typeE
		.amdhsa_group_segment_fixed_size 0
		.amdhsa_private_segment_fixed_size 0
		.amdhsa_kernarg_size 320
		.amdhsa_user_sgpr_count 2
		.amdhsa_user_sgpr_dispatch_ptr 0
		.amdhsa_user_sgpr_queue_ptr 0
		.amdhsa_user_sgpr_kernarg_segment_ptr 1
		.amdhsa_user_sgpr_dispatch_id 0
		.amdhsa_user_sgpr_kernarg_preload_length 0
		.amdhsa_user_sgpr_kernarg_preload_offset 0
		.amdhsa_user_sgpr_private_segment_size 0
		.amdhsa_uses_dynamic_stack 0
		.amdhsa_enable_private_segment 0
		.amdhsa_system_sgpr_workgroup_id_x 1
		.amdhsa_system_sgpr_workgroup_id_y 0
		.amdhsa_system_sgpr_workgroup_id_z 0
		.amdhsa_system_sgpr_workgroup_info 0
		.amdhsa_system_vgpr_workitem_id 0
		.amdhsa_next_free_vgpr 30
		.amdhsa_next_free_sgpr 28
		.amdhsa_accum_offset 32
		.amdhsa_reserve_vcc 1
		.amdhsa_float_round_mode_32 0
		.amdhsa_float_round_mode_16_64 0
		.amdhsa_float_denorm_mode_32 3
		.amdhsa_float_denorm_mode_16_64 3
		.amdhsa_dx10_clamp 1
		.amdhsa_ieee_mode 1
		.amdhsa_fp16_overflow 0
		.amdhsa_tg_split 0
		.amdhsa_exception_fp_ieee_invalid_op 0
		.amdhsa_exception_fp_denorm_src 0
		.amdhsa_exception_fp_ieee_div_zero 0
		.amdhsa_exception_fp_ieee_overflow 0
		.amdhsa_exception_fp_ieee_underflow 0
		.amdhsa_exception_fp_ieee_inexact 0
		.amdhsa_exception_int_div_zero 0
	.end_amdhsa_kernel
	.section	.text._ZN12_GLOBAL__N_141elementwise_kernel_with_index_grid_strideIiZZZN2at6native17logspace_cuda_outERKN3c106ScalarES6_ldRNS1_6TensorEENKUlvE_clEvENKUlvE2_clEvEUllE_EEvT_T0_PN15function_traitsISD_E11result_typeE,"axG",@progbits,_ZN12_GLOBAL__N_141elementwise_kernel_with_index_grid_strideIiZZZN2at6native17logspace_cuda_outERKN3c106ScalarES6_ldRNS1_6TensorEENKUlvE_clEvENKUlvE2_clEvEUllE_EEvT_T0_PN15function_traitsISD_E11result_typeE,comdat
.Lfunc_end28:
	.size	_ZN12_GLOBAL__N_141elementwise_kernel_with_index_grid_strideIiZZZN2at6native17logspace_cuda_outERKN3c106ScalarES6_ldRNS1_6TensorEENKUlvE_clEvENKUlvE2_clEvEUllE_EEvT_T0_PN15function_traitsISD_E11result_typeE, .Lfunc_end28-_ZN12_GLOBAL__N_141elementwise_kernel_with_index_grid_strideIiZZZN2at6native17logspace_cuda_outERKN3c106ScalarES6_ldRNS1_6TensorEENKUlvE_clEvENKUlvE2_clEvEUllE_EEvT_T0_PN15function_traitsISD_E11result_typeE
                                        ; -- End function
	.set _ZN12_GLOBAL__N_141elementwise_kernel_with_index_grid_strideIiZZZN2at6native17logspace_cuda_outERKN3c106ScalarES6_ldRNS1_6TensorEENKUlvE_clEvENKUlvE2_clEvEUllE_EEvT_T0_PN15function_traitsISD_E11result_typeE.num_vgpr, 30
	.set _ZN12_GLOBAL__N_141elementwise_kernel_with_index_grid_strideIiZZZN2at6native17logspace_cuda_outERKN3c106ScalarES6_ldRNS1_6TensorEENKUlvE_clEvENKUlvE2_clEvEUllE_EEvT_T0_PN15function_traitsISD_E11result_typeE.num_agpr, 0
	.set _ZN12_GLOBAL__N_141elementwise_kernel_with_index_grid_strideIiZZZN2at6native17logspace_cuda_outERKN3c106ScalarES6_ldRNS1_6TensorEENKUlvE_clEvENKUlvE2_clEvEUllE_EEvT_T0_PN15function_traitsISD_E11result_typeE.numbered_sgpr, 28
	.set _ZN12_GLOBAL__N_141elementwise_kernel_with_index_grid_strideIiZZZN2at6native17logspace_cuda_outERKN3c106ScalarES6_ldRNS1_6TensorEENKUlvE_clEvENKUlvE2_clEvEUllE_EEvT_T0_PN15function_traitsISD_E11result_typeE.num_named_barrier, 0
	.set _ZN12_GLOBAL__N_141elementwise_kernel_with_index_grid_strideIiZZZN2at6native17logspace_cuda_outERKN3c106ScalarES6_ldRNS1_6TensorEENKUlvE_clEvENKUlvE2_clEvEUllE_EEvT_T0_PN15function_traitsISD_E11result_typeE.private_seg_size, 0
	.set _ZN12_GLOBAL__N_141elementwise_kernel_with_index_grid_strideIiZZZN2at6native17logspace_cuda_outERKN3c106ScalarES6_ldRNS1_6TensorEENKUlvE_clEvENKUlvE2_clEvEUllE_EEvT_T0_PN15function_traitsISD_E11result_typeE.uses_vcc, 1
	.set _ZN12_GLOBAL__N_141elementwise_kernel_with_index_grid_strideIiZZZN2at6native17logspace_cuda_outERKN3c106ScalarES6_ldRNS1_6TensorEENKUlvE_clEvENKUlvE2_clEvEUllE_EEvT_T0_PN15function_traitsISD_E11result_typeE.uses_flat_scratch, 0
	.set _ZN12_GLOBAL__N_141elementwise_kernel_with_index_grid_strideIiZZZN2at6native17logspace_cuda_outERKN3c106ScalarES6_ldRNS1_6TensorEENKUlvE_clEvENKUlvE2_clEvEUllE_EEvT_T0_PN15function_traitsISD_E11result_typeE.has_dyn_sized_stack, 0
	.set _ZN12_GLOBAL__N_141elementwise_kernel_with_index_grid_strideIiZZZN2at6native17logspace_cuda_outERKN3c106ScalarES6_ldRNS1_6TensorEENKUlvE_clEvENKUlvE2_clEvEUllE_EEvT_T0_PN15function_traitsISD_E11result_typeE.has_recursion, 0
	.set _ZN12_GLOBAL__N_141elementwise_kernel_with_index_grid_strideIiZZZN2at6native17logspace_cuda_outERKN3c106ScalarES6_ldRNS1_6TensorEENKUlvE_clEvENKUlvE2_clEvEUllE_EEvT_T0_PN15function_traitsISD_E11result_typeE.has_indirect_call, 0
	.section	.AMDGPU.csdata,"",@progbits
; Kernel info:
; codeLenInByte = 1600
; TotalNumSgprs: 34
; NumVgprs: 30
; NumAgprs: 0
; TotalNumVgprs: 30
; ScratchSize: 0
; MemoryBound: 0
; FloatMode: 240
; IeeeMode: 1
; LDSByteSize: 0 bytes/workgroup (compile time only)
; SGPRBlocks: 4
; VGPRBlocks: 3
; NumSGPRsForWavesPerEU: 34
; NumVGPRsForWavesPerEU: 30
; AccumOffset: 32
; Occupancy: 8
; WaveLimiterHint : 0
; COMPUTE_PGM_RSRC2:SCRATCH_EN: 0
; COMPUTE_PGM_RSRC2:USER_SGPR: 2
; COMPUTE_PGM_RSRC2:TRAP_HANDLER: 0
; COMPUTE_PGM_RSRC2:TGID_X_EN: 1
; COMPUTE_PGM_RSRC2:TGID_Y_EN: 0
; COMPUTE_PGM_RSRC2:TGID_Z_EN: 0
; COMPUTE_PGM_RSRC2:TIDIG_COMP_CNT: 0
; COMPUTE_PGM_RSRC3_GFX90A:ACCUM_OFFSET: 7
; COMPUTE_PGM_RSRC3_GFX90A:TG_SPLIT: 0
	.section	.text._ZN12_GLOBAL__N_141elementwise_kernel_with_index_grid_strideIlZZZN2at6native17logspace_cuda_outERKN3c106ScalarES6_ldRNS1_6TensorEENKUlvE_clEvENKUlvE2_clEvEUllE_EEvT_T0_PN15function_traitsISD_E11result_typeE,"axG",@progbits,_ZN12_GLOBAL__N_141elementwise_kernel_with_index_grid_strideIlZZZN2at6native17logspace_cuda_outERKN3c106ScalarES6_ldRNS1_6TensorEENKUlvE_clEvENKUlvE2_clEvEUllE_EEvT_T0_PN15function_traitsISD_E11result_typeE,comdat
	.globl	_ZN12_GLOBAL__N_141elementwise_kernel_with_index_grid_strideIlZZZN2at6native17logspace_cuda_outERKN3c106ScalarES6_ldRNS1_6TensorEENKUlvE_clEvENKUlvE2_clEvEUllE_EEvT_T0_PN15function_traitsISD_E11result_typeE ; -- Begin function _ZN12_GLOBAL__N_141elementwise_kernel_with_index_grid_strideIlZZZN2at6native17logspace_cuda_outERKN3c106ScalarES6_ldRNS1_6TensorEENKUlvE_clEvENKUlvE2_clEvEUllE_EEvT_T0_PN15function_traitsISD_E11result_typeE
	.p2align	8
	.type	_ZN12_GLOBAL__N_141elementwise_kernel_with_index_grid_strideIlZZZN2at6native17logspace_cuda_outERKN3c106ScalarES6_ldRNS1_6TensorEENKUlvE_clEvENKUlvE2_clEvEUllE_EEvT_T0_PN15function_traitsISD_E11result_typeE,@function
_ZN12_GLOBAL__N_141elementwise_kernel_with_index_grid_strideIlZZZN2at6native17logspace_cuda_outERKN3c106ScalarES6_ldRNS1_6TensorEENKUlvE_clEvENKUlvE2_clEvEUllE_EEvT_T0_PN15function_traitsISD_E11result_typeE: ; @_ZN12_GLOBAL__N_141elementwise_kernel_with_index_grid_strideIlZZZN2at6native17logspace_cuda_outERKN3c106ScalarES6_ldRNS1_6TensorEENKUlvE_clEvENKUlvE2_clEvEUllE_EEvT_T0_PN15function_traitsISD_E11result_typeE
; %bb.0:
	s_load_dword s3, s[0:1], 0x4c
	s_load_dwordx2 s[8:9], s[0:1], 0x0
	s_add_u32 s10, s0, 64
	s_addc_u32 s11, s1, 0
	v_mov_b32_e32 v1, 0
	s_waitcnt lgkmcnt(0)
	s_and_b32 s3, s3, 0xffff
	v_mov_b32_e32 v2, s2
	v_mad_u64_u32 v[0:1], s[4:5], s3, v2, v[0:1]
	v_cmp_gt_i64_e32 vcc, s[8:9], v[0:1]
	s_and_saveexec_b64 s[4:5], vcc
	s_cbranch_execz .LBB29_7
; %bb.1:
	s_load_dwordx4 s[4:7], s[0:1], 0x30
	s_load_dwordx4 s[12:15], s[0:1], 0x8
	s_load_dword s2, s[0:1], 0x18
	s_load_dword s17, s[10:11], 0x0
	s_load_dwordx2 s[18:19], s[0:1], 0x20
	s_load_dword s16, s[0:1], 0x28
	s_waitcnt lgkmcnt(0)
	s_xor_b32 s1, s14, s15
	s_flbit_i32 s0, s15
	s_ashr_i32 s1, s1, 31
	s_add_i32 s0, s0, -1
	s_add_i32 s1, s1, 32
	v_mov_b32_e32 v4, s6
	v_mov_b32_e32 v5, s7
	s_mul_hi_u32 s7, s3, s17
	s_mul_i32 s6, s3, s17
	s_min_u32 s3, s0, s1
	s_lshl_b64 s[0:1], s[14:15], s3
	s_min_u32 s0, s0, 1
	s_or_b32 s0, s1, s0
	s_xor_b32 s1, s12, s13
	v_cvt_f32_i32_e32 v2, s0
	s_flbit_i32 s0, s13
	s_ashr_i32 s1, s1, 31
	s_add_i32 s0, s0, -1
	s_add_i32 s1, s1, 32
	s_min_u32 s10, s0, s1
	s_lshl_b64 s[0:1], s[12:13], s10
	s_min_u32 s0, s0, 1
	s_or_b32 s0, s1, s0
	v_cvt_f32_i32_e32 v3, s0
	s_sub_i32 s0, 32, s3
	v_ldexp_f32 v6, v2, s0
	s_sub_i32 s0, 32, s10
	v_ldexp_f32 v7, v3, s0
	v_not_b32_e32 v3, v1
	v_not_b32_e32 v2, v0
                                        ; implicit-def: $vgpr10
	v_cmp_eq_f32_e64 s[10:11], s2, 1.0
	v_lshl_add_u64 v[2:3], v[2:3], 0, s[18:19]
	v_lshl_add_u64 v[4:5], v[0:1], 3, v[4:5]
	s_lshl_b64 s[12:13], s[6:7], 3
	s_mov_b64 s[14:15], 0
	v_mov_b32_e32 v8, s2
	s_mov_b32 s17, 0x3f2aaaab
	v_mov_b32_e32 v9, 0x3e91f4c4
	s_mov_b32 s18, 0x3f317218
	s_movk_i32 s19, 0x204
	s_mov_b32 s20, 0x7f800000
	s_mov_b32 s21, 0x42b17218
	v_mov_b32_e32 v10, 0x37000000
	s_mov_b32 s22, 0x3fb8aa3b
	s_mov_b32 s23, 0xc2ce8ed0
	v_mov_b32_e32 v11, 0x7f800000
	s_brev_b32 s24, -2
	v_mov_b32_e32 v12, 0x7fc00000
	s_mov_b32 s25, 0x2f800000
	s_mov_b32 s26, 0xcf800000
	v_mov_b32_e32 v13, s7
	s_branch .LBB29_3
.LBB29_2:                               ;   in Loop: Header=BB29_3 Depth=1
	s_or_b64 exec, exec, s[0:1]
	v_cndmask_b32_e64 v28, v14, 1.0, s[10:11]
	v_cmp_neq_f32_e32 vcc, 0, v28
	v_cmp_neq_f32_e64 s[2:3], v28, |v28|
	v_lshl_add_u64 v[0:1], v[0:1], 0, s[6:7]
	v_cndmask_b32_e32 v29, 1.0, v8, vcc
	v_frexp_mant_f32_e64 v14, |v29|
	v_cmp_gt_f32_e32 vcc, s17, v14
	v_cmp_lt_f32_e64 s[28:29], |v29|, 1.0
	s_xor_b64 s[2:3], s[2:3], s[28:29]
	v_cndmask_b32_e64 v15, 1.0, 2.0, vcc
	v_mul_f32_e32 v14, v14, v15
	v_add_f32_e32 v17, 1.0, v14
	v_rcp_f32_e32 v22, v17
	v_add_f32_e32 v15, -1.0, v17
	v_sub_f32_e32 v19, v14, v15
	v_add_f32_e32 v15, -1.0, v14
	v_mul_f32_e32 v23, v15, v22
	v_mul_f32_e32 v16, v17, v23
	v_fma_f32 v18, v23, v17, -v16
	v_fmac_f32_e32 v18, v23, v19
	v_add_f32_e32 v14, v16, v18
	v_sub_f32_e32 v17, v15, v14
	v_pk_add_f32 v[20:21], v[14:15], v[16:17] neg_lo:[0,1] neg_hi:[0,1]
	v_mov_b32_e32 v19, v14
	v_pk_add_f32 v[14:15], v[20:21], v[18:19] neg_lo:[0,1] neg_hi:[0,1]
	v_cmp_class_f32_e64 s[28:29], v29, s19
	v_add_f32_e32 v14, v14, v15
	v_add_f32_e32 v14, v17, v14
	v_mul_f32_e32 v15, v22, v14
	v_add_f32_e32 v14, v23, v15
	v_sub_f32_e32 v16, v14, v23
	v_sub_f32_e32 v24, v15, v16
	v_mul_f32_e32 v15, v14, v14
	v_fma_f32 v17, v14, v14, -v15
	v_add_f32_e32 v16, v24, v24
	v_fmac_f32_e32 v17, v14, v16
	v_add_f32_e32 v16, v15, v17
	v_fmamk_f32 v18, v16, 0x3e76c4e1, v9
	v_fmaak_f32 v18, v16, v18, 0x3ecccdef
	v_sub_f32_e32 v15, v16, v15
	v_sub_f32_e32 v25, v17, v15
	v_mul_f32_e32 v15, v16, v18
	v_fma_f32 v17, v16, v18, -v15
	v_fmac_f32_e32 v17, v25, v18
	v_add_f32_e32 v18, v15, v17
	v_add_f32_e32 v19, 0x3f2aaaaa, v18
	v_sub_f32_e32 v15, v18, v15
	v_sub_f32_e32 v15, v17, v15
	v_add_f32_e32 v17, 0xbf2aaaaa, v19
	v_add_f32_e32 v15, 0x31739010, v15
	v_sub_f32_e32 v17, v18, v17
	v_pk_mul_f32 v[20:21], v[14:15], v[16:17]
	v_pk_add_f32 v[22:23], v[14:15], v[16:17]
	v_fma_f32 v18, v16, v14, -v20
	v_fmac_f32_e32 v18, v16, v24
	v_mov_b32_e32 v21, v23
	v_fmac_f32_e32 v18, v25, v14
	v_pk_add_f32 v[16:17], v[20:21], v[18:19]
	v_ldexp_f32 v26, v24, 1
	v_sub_f32_e32 v15, v16, v20
	v_sub_f32_e32 v15, v18, v15
	;; [unrolled: 1-line block ×3, first 2 shown]
	v_add_f32_e32 v22, v23, v18
	v_pk_mul_f32 v[18:19], v[16:17], v[16:17] op_sel:[0,1] op_sel_hi:[1,0]
	v_cvt_f64_f32_e64 v[20:21], |v29|
	v_frexp_exp_i32_f64_e32 v19, v[20:21]
	v_subbrev_co_u32_e32 v19, vcc, 0, v19, vcc
	v_cvt_f32_i32_e32 v19, v19
	v_fma_f32 v20, v16, v17, -v18
	v_fmac_f32_e32 v20, v16, v22
	v_fmac_f32_e32 v20, v15, v17
	v_mul_f32_e32 v16, 0x3f317218, v19
	v_fma_f32 v22, v19, s18, -v16
	v_fmac_f32_e32 v22, 0xb102e308, v19
	v_ldexp_f32 v23, v14, 1
	v_add_f32_e32 v17, v18, v20
	v_pk_add_f32 v[14:15], v[16:17], v[22:23]
	v_mov_b32_e32 v24, v17
	v_mov_b32_e32 v25, v15
	;; [unrolled: 1-line block ×3, first 2 shown]
	v_pk_add_f32 v[18:19], v[24:25], v[18:19] neg_lo:[0,1] neg_hi:[0,1]
	v_mov_b32_e32 v21, v17
	v_pk_add_f32 v[18:19], v[20:21], v[18:19] neg_lo:[0,1] neg_hi:[0,1]
	v_mov_b32_e32 v23, v14
	v_add_f32_e32 v17, v26, v18
	v_add_f32_e32 v17, v17, v19
	v_pk_add_f32 v[18:19], v[14:15], v[16:17] neg_lo:[0,1] neg_hi:[0,1]
	v_pk_add_f32 v[20:21], v[14:15], v[16:17]
	v_mov_b32_e32 v16, v17
	v_mov_b32_e32 v19, v21
	v_pk_add_f32 v[24:25], v[22:23], v[18:19] neg_lo:[0,1] neg_hi:[0,1]
	v_pk_add_f32 v[18:19], v[22:23], v[18:19]
	v_mov_b32_e32 v17, v14
	v_pk_add_f32 v[22:23], v[18:19], v[14:15] op_sel:[1,0] op_sel_hi:[0,1] neg_lo:[0,1] neg_hi:[0,1]
	v_pk_add_f32 v[26:27], v[20:21], v[22:23] op_sel_hi:[1,0] neg_lo:[0,1] neg_hi:[0,1]
	v_mov_b32_e32 v20, v21
	v_mov_b32_e32 v21, v19
	v_pk_mov_b32 v[22:23], v[14:15], v[22:23] op_sel:[1,0]
	v_mov_b32_e32 v26, v24
	v_pk_add_f32 v[20:21], v[20:21], v[22:23] neg_lo:[0,1] neg_hi:[0,1]
	v_mov_b32_e32 v25, v19
	v_pk_add_f32 v[14:15], v[16:17], v[20:21] neg_lo:[0,1] neg_hi:[0,1]
	s_nop 0
	v_pk_add_f32 v[16:17], v[26:27], v[14:15]
	s_nop 0
	v_pk_add_f32 v[20:21], v[16:17], v[16:17] op_sel:[0,1] op_sel_hi:[1,0]
	s_nop 0
	v_pk_add_f32 v[18:19], v[18:19], v[20:21] op_sel:[1,0] op_sel_hi:[0,1]
	v_mov_b32_e32 v17, v18
	v_pk_add_f32 v[22:23], v[16:17], v[24:25] neg_lo:[0,1] neg_hi:[0,1]
	v_mov_b32_e32 v15, v20
	v_sub_f32_e32 v16, v16, v22
	v_pk_add_f32 v[14:15], v[14:15], v[22:23] neg_lo:[0,1] neg_hi:[0,1]
	v_sub_f32_e32 v16, v24, v16
	v_add_f32_e32 v14, v14, v16
	v_add_f32_e32 v14, v14, v15
	v_add_f32_e32 v15, v18, v14
	v_sub_f32_e32 v16, v15, v18
	v_sub_f32_e32 v14, v14, v16
	v_mul_f32_e32 v16, v28, v15
	v_fma_f32 v15, v28, v15, -v16
	v_fmac_f32_e32 v15, v28, v14
	v_add_f32_e32 v14, v16, v15
	v_cmp_class_f32_e64 vcc, v16, s19
	v_sub_f32_e32 v17, v14, v16
	v_sub_f32_e32 v15, v15, v17
	v_cndmask_b32_e32 v14, v14, v16, vcc
	v_cmp_eq_f32_e32 vcc, s21, v14
	s_nop 1
	v_cndmask_b32_e32 v16, 0, v10, vcc
	v_sub_f32_e32 v17, v14, v16
	v_mul_f32_e32 v18, 0x3fb8aa3b, v17
	v_fma_f32 v19, v17, s22, -v18
	v_rndne_f32_e32 v20, v18
	v_fmac_f32_e32 v19, 0x32a5705f, v17
	v_sub_f32_e32 v18, v18, v20
	v_add_f32_e32 v18, v18, v19
	v_exp_f32_e32 v18, v18
	v_cvt_i32_f32_e32 v19, v20
	v_cmp_neq_f32_e64 vcc, |v14|, s20
	s_nop 1
	v_cndmask_b32_e32 v14, 0, v15, vcc
	v_ldexp_f32 v15, v18, v19
	v_cmp_ngt_f32_e32 vcc, s23, v17
	v_add_f32_e32 v14, v16, v14
	s_nop 0
	v_cndmask_b32_e32 v15, 0, v15, vcc
	v_cmp_nlt_f32_e32 vcc, s21, v17
	s_nop 1
	v_cndmask_b32_e32 v15, v11, v15, vcc
	v_fma_f32 v14, v15, v14, v15
	v_cmp_class_f32_e64 vcc, v15, s19
	s_nop 1
	v_cndmask_b32_e32 v14, v14, v15, vcc
	v_trunc_f32_e32 v15, v28
	v_cmp_eq_f32_e32 vcc, v15, v28
	v_mul_f32_e32 v15, 0.5, v28
	v_trunc_f32_e32 v16, v15
	v_cmp_neq_f32_e64 s[0:1], v16, v15
	s_and_b64 s[0:1], vcc, s[0:1]
	s_nop 0
	v_cndmask_b32_e64 v15, 1.0, v29, s[0:1]
	v_bfi_b32 v14, s24, v14, v15
	v_cndmask_b32_e32 v15, v12, v14, vcc
	v_cmp_gt_f32_e32 vcc, 0, v29
	v_cndmask_b32_e64 v16, 0, v29, s[0:1]
	s_nop 0
	v_cndmask_b32_e32 v14, v14, v15, vcc
	v_cndmask_b32_e64 v15, v11, 0, s[2:3]
	v_cmp_neq_f32_e64 vcc, |v29|, 1.0
	v_cmp_gt_f32_e64 s[2:3], 0, v28
	s_nop 0
	v_cndmask_b32_e32 v15, 1.0, v15, vcc
	v_cmp_class_f32_e64 vcc, v28, s19
	s_nop 1
	v_cndmask_b32_e32 v14, v14, v15, vcc
	v_cmp_eq_f32_e32 vcc, 0, v29
	s_xor_b64 s[2:3], s[2:3], vcc
	v_cndmask_b32_e64 v15, v11, 0, s[2:3]
	v_bfi_b32 v15, s24, v15, v16
	s_or_b64 vcc, vcc, s[28:29]
	v_cndmask_b32_e32 v14, v14, v15, vcc
	v_cmp_o_f32_e32 vcc, v29, v28
	s_nop 1
	v_cndmask_b32_e32 v14, v12, v14, vcc
	v_trunc_f32_e32 v14, v14
	v_mul_f32_e64 v15, |v14|, s25
	v_floor_f32_e32 v15, v15
	v_fma_f32 v16, v15, s26, |v14|
	v_cvt_u32_f32_e32 v16, v16
	v_cvt_u32_f32_e32 v15, v15
	v_ashrrev_i32_e32 v17, 31, v14
	v_xor_b32_e32 v14, v16, v17
	v_xor_b32_e32 v15, v15, v17
	v_sub_co_u32_e32 v14, vcc, v14, v17
	s_nop 1
	v_subb_co_u32_e32 v15, vcc, v15, v17, vcc
	v_subrev_co_u32_e32 v2, vcc, s6, v2
	global_store_dwordx2 v[4:5], v[14:15], off
	s_nop 0
	v_subb_co_u32_e32 v3, vcc, v3, v13, vcc
	v_cmp_le_i64_e32 vcc, s[8:9], v[0:1]
	s_or_b64 s[14:15], vcc, s[14:15]
	v_lshl_add_u64 v[4:5], v[4:5], 0, s[12:13]
	s_andn2_b64 exec, exec, s[14:15]
	s_cbranch_execz .LBB29_7
.LBB29_3:                               ; =>This Inner Loop Header: Depth=1
	v_cmp_le_i64_e32 vcc, s[4:5], v[0:1]
                                        ; implicit-def: $vgpr14
	s_and_saveexec_b64 s[0:1], vcc
	s_xor_b64 s[0:1], exec, s[0:1]
	s_cbranch_execz .LBB29_5
; %bb.4:                                ;   in Loop: Header=BB29_3 Depth=1
	v_xor_b32_e32 v15, v2, v3
	v_ffbh_i32_e32 v14, v3
	v_ashrrev_i32_e32 v15, 31, v15
	v_add_u32_e32 v14, -1, v14
	v_add_u32_e32 v15, 32, v15
	v_min_u32_e32 v16, v14, v15
	v_lshlrev_b64 v[14:15], v16, v[2:3]
	v_min_u32_e32 v14, 1, v14
	v_or_b32_e32 v14, v15, v14
	v_cvt_f32_i32_e32 v14, v14
	v_sub_u32_e32 v15, 32, v16
	v_ldexp_f32 v14, v14, v15
	v_fma_f32 v14, -s16, v14, v6
.LBB29_5:                               ;   in Loop: Header=BB29_3 Depth=1
	s_andn2_saveexec_b64 s[0:1], s[0:1]
	s_cbranch_execz .LBB29_2
; %bb.6:                                ;   in Loop: Header=BB29_3 Depth=1
	v_ffbh_u32_e32 v14, v1
	v_min_u32_e32 v16, 32, v14
	v_lshlrev_b64 v[14:15], v16, v[0:1]
	v_min_u32_e32 v14, 1, v14
	v_or_b32_e32 v14, v15, v14
	v_cvt_f32_u32_e32 v14, v14
	v_sub_u32_e32 v15, 32, v16
	v_ldexp_f32 v14, v14, v15
	v_fma_f32 v14, s16, v14, v7
	s_branch .LBB29_2
.LBB29_7:
	s_endpgm
	.section	.rodata,"a",@progbits
	.p2align	6, 0x0
	.amdhsa_kernel _ZN12_GLOBAL__N_141elementwise_kernel_with_index_grid_strideIlZZZN2at6native17logspace_cuda_outERKN3c106ScalarES6_ldRNS1_6TensorEENKUlvE_clEvENKUlvE2_clEvEUllE_EEvT_T0_PN15function_traitsISD_E11result_typeE
		.amdhsa_group_segment_fixed_size 0
		.amdhsa_private_segment_fixed_size 0
		.amdhsa_kernarg_size 320
		.amdhsa_user_sgpr_count 2
		.amdhsa_user_sgpr_dispatch_ptr 0
		.amdhsa_user_sgpr_queue_ptr 0
		.amdhsa_user_sgpr_kernarg_segment_ptr 1
		.amdhsa_user_sgpr_dispatch_id 0
		.amdhsa_user_sgpr_kernarg_preload_length 0
		.amdhsa_user_sgpr_kernarg_preload_offset 0
		.amdhsa_user_sgpr_private_segment_size 0
		.amdhsa_uses_dynamic_stack 0
		.amdhsa_enable_private_segment 0
		.amdhsa_system_sgpr_workgroup_id_x 1
		.amdhsa_system_sgpr_workgroup_id_y 0
		.amdhsa_system_sgpr_workgroup_id_z 0
		.amdhsa_system_sgpr_workgroup_info 0
		.amdhsa_system_vgpr_workitem_id 0
		.amdhsa_next_free_vgpr 30
		.amdhsa_next_free_sgpr 30
		.amdhsa_accum_offset 32
		.amdhsa_reserve_vcc 1
		.amdhsa_float_round_mode_32 0
		.amdhsa_float_round_mode_16_64 0
		.amdhsa_float_denorm_mode_32 3
		.amdhsa_float_denorm_mode_16_64 3
		.amdhsa_dx10_clamp 1
		.amdhsa_ieee_mode 1
		.amdhsa_fp16_overflow 0
		.amdhsa_tg_split 0
		.amdhsa_exception_fp_ieee_invalid_op 0
		.amdhsa_exception_fp_denorm_src 0
		.amdhsa_exception_fp_ieee_div_zero 0
		.amdhsa_exception_fp_ieee_overflow 0
		.amdhsa_exception_fp_ieee_underflow 0
		.amdhsa_exception_fp_ieee_inexact 0
		.amdhsa_exception_int_div_zero 0
	.end_amdhsa_kernel
	.section	.text._ZN12_GLOBAL__N_141elementwise_kernel_with_index_grid_strideIlZZZN2at6native17logspace_cuda_outERKN3c106ScalarES6_ldRNS1_6TensorEENKUlvE_clEvENKUlvE2_clEvEUllE_EEvT_T0_PN15function_traitsISD_E11result_typeE,"axG",@progbits,_ZN12_GLOBAL__N_141elementwise_kernel_with_index_grid_strideIlZZZN2at6native17logspace_cuda_outERKN3c106ScalarES6_ldRNS1_6TensorEENKUlvE_clEvENKUlvE2_clEvEUllE_EEvT_T0_PN15function_traitsISD_E11result_typeE,comdat
.Lfunc_end29:
	.size	_ZN12_GLOBAL__N_141elementwise_kernel_with_index_grid_strideIlZZZN2at6native17logspace_cuda_outERKN3c106ScalarES6_ldRNS1_6TensorEENKUlvE_clEvENKUlvE2_clEvEUllE_EEvT_T0_PN15function_traitsISD_E11result_typeE, .Lfunc_end29-_ZN12_GLOBAL__N_141elementwise_kernel_with_index_grid_strideIlZZZN2at6native17logspace_cuda_outERKN3c106ScalarES6_ldRNS1_6TensorEENKUlvE_clEvENKUlvE2_clEvEUllE_EEvT_T0_PN15function_traitsISD_E11result_typeE
                                        ; -- End function
	.set _ZN12_GLOBAL__N_141elementwise_kernel_with_index_grid_strideIlZZZN2at6native17logspace_cuda_outERKN3c106ScalarES6_ldRNS1_6TensorEENKUlvE_clEvENKUlvE2_clEvEUllE_EEvT_T0_PN15function_traitsISD_E11result_typeE.num_vgpr, 30
	.set _ZN12_GLOBAL__N_141elementwise_kernel_with_index_grid_strideIlZZZN2at6native17logspace_cuda_outERKN3c106ScalarES6_ldRNS1_6TensorEENKUlvE_clEvENKUlvE2_clEvEUllE_EEvT_T0_PN15function_traitsISD_E11result_typeE.num_agpr, 0
	.set _ZN12_GLOBAL__N_141elementwise_kernel_with_index_grid_strideIlZZZN2at6native17logspace_cuda_outERKN3c106ScalarES6_ldRNS1_6TensorEENKUlvE_clEvENKUlvE2_clEvEUllE_EEvT_T0_PN15function_traitsISD_E11result_typeE.numbered_sgpr, 30
	.set _ZN12_GLOBAL__N_141elementwise_kernel_with_index_grid_strideIlZZZN2at6native17logspace_cuda_outERKN3c106ScalarES6_ldRNS1_6TensorEENKUlvE_clEvENKUlvE2_clEvEUllE_EEvT_T0_PN15function_traitsISD_E11result_typeE.num_named_barrier, 0
	.set _ZN12_GLOBAL__N_141elementwise_kernel_with_index_grid_strideIlZZZN2at6native17logspace_cuda_outERKN3c106ScalarES6_ldRNS1_6TensorEENKUlvE_clEvENKUlvE2_clEvEUllE_EEvT_T0_PN15function_traitsISD_E11result_typeE.private_seg_size, 0
	.set _ZN12_GLOBAL__N_141elementwise_kernel_with_index_grid_strideIlZZZN2at6native17logspace_cuda_outERKN3c106ScalarES6_ldRNS1_6TensorEENKUlvE_clEvENKUlvE2_clEvEUllE_EEvT_T0_PN15function_traitsISD_E11result_typeE.uses_vcc, 1
	.set _ZN12_GLOBAL__N_141elementwise_kernel_with_index_grid_strideIlZZZN2at6native17logspace_cuda_outERKN3c106ScalarES6_ldRNS1_6TensorEENKUlvE_clEvENKUlvE2_clEvEUllE_EEvT_T0_PN15function_traitsISD_E11result_typeE.uses_flat_scratch, 0
	.set _ZN12_GLOBAL__N_141elementwise_kernel_with_index_grid_strideIlZZZN2at6native17logspace_cuda_outERKN3c106ScalarES6_ldRNS1_6TensorEENKUlvE_clEvENKUlvE2_clEvEUllE_EEvT_T0_PN15function_traitsISD_E11result_typeE.has_dyn_sized_stack, 0
	.set _ZN12_GLOBAL__N_141elementwise_kernel_with_index_grid_strideIlZZZN2at6native17logspace_cuda_outERKN3c106ScalarES6_ldRNS1_6TensorEENKUlvE_clEvENKUlvE2_clEvEUllE_EEvT_T0_PN15function_traitsISD_E11result_typeE.has_recursion, 0
	.set _ZN12_GLOBAL__N_141elementwise_kernel_with_index_grid_strideIlZZZN2at6native17logspace_cuda_outERKN3c106ScalarES6_ldRNS1_6TensorEENKUlvE_clEvENKUlvE2_clEvEUllE_EEvT_T0_PN15function_traitsISD_E11result_typeE.has_indirect_call, 0
	.section	.AMDGPU.csdata,"",@progbits
; Kernel info:
; codeLenInByte = 1640
; TotalNumSgprs: 36
; NumVgprs: 30
; NumAgprs: 0
; TotalNumVgprs: 30
; ScratchSize: 0
; MemoryBound: 0
; FloatMode: 240
; IeeeMode: 1
; LDSByteSize: 0 bytes/workgroup (compile time only)
; SGPRBlocks: 4
; VGPRBlocks: 3
; NumSGPRsForWavesPerEU: 36
; NumVGPRsForWavesPerEU: 30
; AccumOffset: 32
; Occupancy: 8
; WaveLimiterHint : 0
; COMPUTE_PGM_RSRC2:SCRATCH_EN: 0
; COMPUTE_PGM_RSRC2:USER_SGPR: 2
; COMPUTE_PGM_RSRC2:TRAP_HANDLER: 0
; COMPUTE_PGM_RSRC2:TGID_X_EN: 1
; COMPUTE_PGM_RSRC2:TGID_Y_EN: 0
; COMPUTE_PGM_RSRC2:TGID_Z_EN: 0
; COMPUTE_PGM_RSRC2:TIDIG_COMP_CNT: 0
; COMPUTE_PGM_RSRC3_GFX90A:ACCUM_OFFSET: 7
; COMPUTE_PGM_RSRC3_GFX90A:TG_SPLIT: 0
	.section	.text._ZN12_GLOBAL__N_141elementwise_kernel_with_index_grid_strideIiZZZN2at6native17logspace_cuda_outERKN3c106ScalarES6_ldRNS1_6TensorEENKUlvE_clEvENKUlvE3_clEvEUllE_EEvT_T0_PN15function_traitsISD_E11result_typeE,"axG",@progbits,_ZN12_GLOBAL__N_141elementwise_kernel_with_index_grid_strideIiZZZN2at6native17logspace_cuda_outERKN3c106ScalarES6_ldRNS1_6TensorEENKUlvE_clEvENKUlvE3_clEvEUllE_EEvT_T0_PN15function_traitsISD_E11result_typeE,comdat
	.globl	_ZN12_GLOBAL__N_141elementwise_kernel_with_index_grid_strideIiZZZN2at6native17logspace_cuda_outERKN3c106ScalarES6_ldRNS1_6TensorEENKUlvE_clEvENKUlvE3_clEvEUllE_EEvT_T0_PN15function_traitsISD_E11result_typeE ; -- Begin function _ZN12_GLOBAL__N_141elementwise_kernel_with_index_grid_strideIiZZZN2at6native17logspace_cuda_outERKN3c106ScalarES6_ldRNS1_6TensorEENKUlvE_clEvENKUlvE3_clEvEUllE_EEvT_T0_PN15function_traitsISD_E11result_typeE
	.p2align	8
	.type	_ZN12_GLOBAL__N_141elementwise_kernel_with_index_grid_strideIiZZZN2at6native17logspace_cuda_outERKN3c106ScalarES6_ldRNS1_6TensorEENKUlvE_clEvENKUlvE3_clEvEUllE_EEvT_T0_PN15function_traitsISD_E11result_typeE,@function
_ZN12_GLOBAL__N_141elementwise_kernel_with_index_grid_strideIiZZZN2at6native17logspace_cuda_outERKN3c106ScalarES6_ldRNS1_6TensorEENKUlvE_clEvENKUlvE3_clEvEUllE_EEvT_T0_PN15function_traitsISD_E11result_typeE: ; @_ZN12_GLOBAL__N_141elementwise_kernel_with_index_grid_strideIiZZZN2at6native17logspace_cuda_outERKN3c106ScalarES6_ldRNS1_6TensorEENKUlvE_clEvENKUlvE3_clEvEUllE_EEvT_T0_PN15function_traitsISD_E11result_typeE
; %bb.0:
	s_load_dword s3, s[0:1], 0x3c
	s_load_dword s14, s[0:1], 0x0
	s_add_u32 s8, s0, 48
	s_addc_u32 s9, s1, 0
	s_waitcnt lgkmcnt(0)
	s_and_b32 s3, s3, 0xffff
	s_mul_i32 s2, s2, s3
	v_add_u32_e32 v0, s2, v0
	v_cmp_gt_i32_e32 vcc, s14, v0
	s_and_saveexec_b64 s[4:5], vcc
	s_cbranch_execz .LBB30_7
; %bb.1:
	s_load_dwordx4 s[4:7], s[0:1], 0x20
	s_load_dword s2, s[8:9], 0x0
	s_load_dwordx4 s[16:19], s[0:1], 0x8
	s_load_dword s15, s[0:1], 0x18
	v_ashrrev_i32_e32 v1, 31, v0
	s_waitcnt lgkmcnt(0)
	v_mov_b32_e32 v4, s6
	s_mul_i32 s6, s2, s3
	s_ashr_i32 s0, s16, 16
	v_cvt_f32_i32_e32 v6, s0
	s_sext_i32_i16 s0, s16
	v_cvt_f32_i32_e32 v7, s0
	v_mov_b32_e32 v5, s7
	v_not_b32_e32 v3, v1
	v_not_b32_e32 v2, v0
	s_ashr_i32 s7, s6, 31
                                        ; implicit-def: $vgpr10
	v_cmp_eq_f32_e64 s[8:9], s17, 1.0
	v_lshl_add_u64 v[2:3], v[2:3], 0, s[18:19]
	v_lshl_add_u64 v[4:5], v[0:1], 1, v[4:5]
	s_lshl_b64 s[10:11], s[6:7], 1
	s_mov_b64 s[12:13], 0
	v_mov_b32_e32 v8, s17
	s_mov_b32 s16, 0x3f2aaaab
	v_mov_b32_e32 v9, 0x3e91f4c4
	s_mov_b32 s17, 0x3f317218
	s_movk_i32 s18, 0x204
	s_mov_b32 s19, 0x7f800000
	s_mov_b32 s20, 0x42b17218
	v_mov_b32_e32 v10, 0x37000000
	s_mov_b32 s21, 0x3fb8aa3b
	s_mov_b32 s22, 0xc2ce8ed0
	v_mov_b32_e32 v11, 0x7f800000
	s_brev_b32 s23, -2
	v_mov_b32_e32 v12, 0x7fc00000
	v_mov_b32_e32 v13, s7
	s_branch .LBB30_3
.LBB30_2:                               ;   in Loop: Header=BB30_3 Depth=1
	s_or_b64 exec, exec, s[0:1]
	v_cndmask_b32_e64 v28, v14, 1.0, s[8:9]
	v_cmp_neq_f32_e32 vcc, 0, v28
	v_cmp_neq_f32_e64 s[2:3], v28, |v28|
	v_lshl_add_u64 v[0:1], v[0:1], 0, s[6:7]
	v_cndmask_b32_e32 v29, 1.0, v8, vcc
	v_frexp_mant_f32_e64 v14, |v29|
	v_cmp_gt_f32_e32 vcc, s16, v14
	v_cmp_lt_f32_e64 s[24:25], |v29|, 1.0
	s_xor_b64 s[2:3], s[2:3], s[24:25]
	v_cndmask_b32_e64 v15, 1.0, 2.0, vcc
	v_mul_f32_e32 v14, v14, v15
	v_add_f32_e32 v17, 1.0, v14
	v_rcp_f32_e32 v22, v17
	v_add_f32_e32 v15, -1.0, v17
	v_sub_f32_e32 v19, v14, v15
	v_add_f32_e32 v15, -1.0, v14
	v_mul_f32_e32 v23, v15, v22
	v_mul_f32_e32 v16, v17, v23
	v_fma_f32 v18, v23, v17, -v16
	v_fmac_f32_e32 v18, v23, v19
	v_add_f32_e32 v14, v16, v18
	v_sub_f32_e32 v17, v15, v14
	v_pk_add_f32 v[20:21], v[14:15], v[16:17] neg_lo:[0,1] neg_hi:[0,1]
	v_mov_b32_e32 v19, v14
	v_pk_add_f32 v[14:15], v[20:21], v[18:19] neg_lo:[0,1] neg_hi:[0,1]
	v_cmp_class_f32_e64 s[24:25], v29, s18
	v_add_f32_e32 v14, v14, v15
	v_add_f32_e32 v14, v17, v14
	v_mul_f32_e32 v15, v22, v14
	v_add_f32_e32 v14, v23, v15
	v_sub_f32_e32 v16, v14, v23
	v_sub_f32_e32 v24, v15, v16
	v_mul_f32_e32 v15, v14, v14
	v_fma_f32 v17, v14, v14, -v15
	v_add_f32_e32 v16, v24, v24
	v_fmac_f32_e32 v17, v14, v16
	v_add_f32_e32 v16, v15, v17
	v_fmamk_f32 v18, v16, 0x3e76c4e1, v9
	v_fmaak_f32 v18, v16, v18, 0x3ecccdef
	v_sub_f32_e32 v15, v16, v15
	v_sub_f32_e32 v25, v17, v15
	v_mul_f32_e32 v15, v16, v18
	v_fma_f32 v17, v16, v18, -v15
	v_fmac_f32_e32 v17, v25, v18
	v_add_f32_e32 v18, v15, v17
	v_add_f32_e32 v19, 0x3f2aaaaa, v18
	v_sub_f32_e32 v15, v18, v15
	v_sub_f32_e32 v15, v17, v15
	v_add_f32_e32 v17, 0xbf2aaaaa, v19
	v_add_f32_e32 v15, 0x31739010, v15
	v_sub_f32_e32 v17, v18, v17
	v_pk_mul_f32 v[20:21], v[14:15], v[16:17]
	v_pk_add_f32 v[22:23], v[14:15], v[16:17]
	v_fma_f32 v18, v16, v14, -v20
	v_fmac_f32_e32 v18, v16, v24
	v_mov_b32_e32 v21, v23
	v_fmac_f32_e32 v18, v25, v14
	v_pk_add_f32 v[16:17], v[20:21], v[18:19]
	v_ldexp_f32 v26, v24, 1
	v_sub_f32_e32 v15, v16, v20
	v_sub_f32_e32 v15, v18, v15
	;; [unrolled: 1-line block ×3, first 2 shown]
	v_add_f32_e32 v22, v23, v18
	v_pk_mul_f32 v[18:19], v[16:17], v[16:17] op_sel:[0,1] op_sel_hi:[1,0]
	v_cvt_f64_f32_e64 v[20:21], |v29|
	v_frexp_exp_i32_f64_e32 v19, v[20:21]
	v_subbrev_co_u32_e32 v19, vcc, 0, v19, vcc
	v_cvt_f32_i32_e32 v19, v19
	v_fma_f32 v20, v16, v17, -v18
	v_fmac_f32_e32 v20, v16, v22
	v_fmac_f32_e32 v20, v15, v17
	v_mul_f32_e32 v16, 0x3f317218, v19
	v_fma_f32 v22, v19, s17, -v16
	v_fmac_f32_e32 v22, 0xb102e308, v19
	v_ldexp_f32 v23, v14, 1
	v_add_f32_e32 v17, v18, v20
	v_pk_add_f32 v[14:15], v[16:17], v[22:23]
	v_mov_b32_e32 v24, v17
	v_mov_b32_e32 v25, v15
	;; [unrolled: 1-line block ×3, first 2 shown]
	v_pk_add_f32 v[18:19], v[24:25], v[18:19] neg_lo:[0,1] neg_hi:[0,1]
	v_mov_b32_e32 v21, v17
	v_pk_add_f32 v[18:19], v[20:21], v[18:19] neg_lo:[0,1] neg_hi:[0,1]
	v_mov_b32_e32 v23, v14
	v_add_f32_e32 v17, v26, v18
	v_add_f32_e32 v17, v17, v19
	v_pk_add_f32 v[18:19], v[14:15], v[16:17] neg_lo:[0,1] neg_hi:[0,1]
	v_pk_add_f32 v[20:21], v[14:15], v[16:17]
	v_mov_b32_e32 v16, v17
	v_mov_b32_e32 v19, v21
	v_pk_add_f32 v[24:25], v[22:23], v[18:19] neg_lo:[0,1] neg_hi:[0,1]
	v_pk_add_f32 v[18:19], v[22:23], v[18:19]
	v_mov_b32_e32 v17, v14
	v_pk_add_f32 v[22:23], v[18:19], v[14:15] op_sel:[1,0] op_sel_hi:[0,1] neg_lo:[0,1] neg_hi:[0,1]
	v_pk_add_f32 v[26:27], v[20:21], v[22:23] op_sel_hi:[1,0] neg_lo:[0,1] neg_hi:[0,1]
	v_mov_b32_e32 v20, v21
	v_mov_b32_e32 v21, v19
	v_pk_mov_b32 v[22:23], v[14:15], v[22:23] op_sel:[1,0]
	v_mov_b32_e32 v26, v24
	v_pk_add_f32 v[20:21], v[20:21], v[22:23] neg_lo:[0,1] neg_hi:[0,1]
	v_mov_b32_e32 v25, v19
	v_pk_add_f32 v[14:15], v[16:17], v[20:21] neg_lo:[0,1] neg_hi:[0,1]
	s_nop 0
	v_pk_add_f32 v[16:17], v[26:27], v[14:15]
	s_nop 0
	v_pk_add_f32 v[20:21], v[16:17], v[16:17] op_sel:[0,1] op_sel_hi:[1,0]
	s_nop 0
	v_pk_add_f32 v[18:19], v[18:19], v[20:21] op_sel:[1,0] op_sel_hi:[0,1]
	v_mov_b32_e32 v17, v18
	v_pk_add_f32 v[22:23], v[16:17], v[24:25] neg_lo:[0,1] neg_hi:[0,1]
	v_mov_b32_e32 v15, v20
	v_sub_f32_e32 v16, v16, v22
	v_pk_add_f32 v[14:15], v[14:15], v[22:23] neg_lo:[0,1] neg_hi:[0,1]
	v_sub_f32_e32 v16, v24, v16
	v_add_f32_e32 v14, v14, v16
	v_add_f32_e32 v14, v14, v15
	;; [unrolled: 1-line block ×3, first 2 shown]
	v_sub_f32_e32 v16, v15, v18
	v_sub_f32_e32 v14, v14, v16
	v_mul_f32_e32 v16, v28, v15
	v_fma_f32 v15, v28, v15, -v16
	v_fmac_f32_e32 v15, v28, v14
	v_add_f32_e32 v14, v16, v15
	v_cmp_class_f32_e64 vcc, v16, s18
	v_sub_f32_e32 v17, v14, v16
	v_sub_f32_e32 v15, v15, v17
	v_cndmask_b32_e32 v14, v14, v16, vcc
	v_cmp_eq_f32_e32 vcc, s20, v14
	s_nop 1
	v_cndmask_b32_e32 v16, 0, v10, vcc
	v_sub_f32_e32 v17, v14, v16
	v_mul_f32_e32 v18, 0x3fb8aa3b, v17
	v_fma_f32 v19, v17, s21, -v18
	v_rndne_f32_e32 v20, v18
	v_fmac_f32_e32 v19, 0x32a5705f, v17
	v_sub_f32_e32 v18, v18, v20
	v_add_f32_e32 v18, v18, v19
	v_exp_f32_e32 v18, v18
	v_cvt_i32_f32_e32 v19, v20
	v_cmp_neq_f32_e64 vcc, |v14|, s19
	s_nop 1
	v_cndmask_b32_e32 v14, 0, v15, vcc
	v_ldexp_f32 v15, v18, v19
	v_cmp_ngt_f32_e32 vcc, s22, v17
	v_add_f32_e32 v14, v16, v14
	s_nop 0
	v_cndmask_b32_e32 v15, 0, v15, vcc
	v_cmp_nlt_f32_e32 vcc, s20, v17
	s_nop 1
	v_cndmask_b32_e32 v15, v11, v15, vcc
	v_fma_f32 v14, v15, v14, v15
	v_cmp_class_f32_e64 vcc, v15, s18
	s_nop 1
	v_cndmask_b32_e32 v14, v14, v15, vcc
	v_trunc_f32_e32 v15, v28
	v_cmp_eq_f32_e32 vcc, v15, v28
	v_mul_f32_e32 v15, 0.5, v28
	v_trunc_f32_e32 v16, v15
	v_cmp_neq_f32_e64 s[0:1], v16, v15
	s_and_b64 s[0:1], vcc, s[0:1]
	s_nop 0
	v_cndmask_b32_e64 v15, 1.0, v29, s[0:1]
	v_bfi_b32 v14, s23, v14, v15
	v_cndmask_b32_e32 v15, v12, v14, vcc
	v_cmp_gt_f32_e32 vcc, 0, v29
	v_cndmask_b32_e64 v16, 0, v29, s[0:1]
	s_nop 0
	v_cndmask_b32_e32 v14, v14, v15, vcc
	v_cndmask_b32_e64 v15, v11, 0, s[2:3]
	v_cmp_neq_f32_e64 vcc, |v29|, 1.0
	v_cmp_gt_f32_e64 s[2:3], 0, v28
	s_nop 0
	v_cndmask_b32_e32 v15, 1.0, v15, vcc
	v_cmp_class_f32_e64 vcc, v28, s18
	s_nop 1
	v_cndmask_b32_e32 v14, v14, v15, vcc
	v_cmp_eq_f32_e32 vcc, 0, v29
	s_xor_b64 s[2:3], s[2:3], vcc
	v_cndmask_b32_e64 v15, v11, 0, s[2:3]
	v_bfi_b32 v15, s23, v15, v16
	s_or_b64 vcc, vcc, s[24:25]
	v_cndmask_b32_e32 v14, v14, v15, vcc
	v_cmp_o_f32_e32 vcc, v29, v28
	s_nop 1
	v_cndmask_b32_e32 v14, v12, v14, vcc
	v_cvt_i32_f32_e32 v14, v14
	v_subrev_co_u32_e32 v2, vcc, s6, v2
	global_store_short v[4:5], v14, off
	s_nop 0
	v_subb_co_u32_e32 v3, vcc, v3, v13, vcc
	v_cmp_le_i32_e32 vcc, s14, v0
	s_or_b64 s[12:13], vcc, s[12:13]
	v_lshl_add_u64 v[4:5], v[4:5], 0, s[10:11]
	s_andn2_b64 exec, exec, s[12:13]
	s_cbranch_execz .LBB30_7
.LBB30_3:                               ; =>This Inner Loop Header: Depth=1
	v_cmp_le_i64_e32 vcc, s[4:5], v[0:1]
                                        ; implicit-def: $vgpr14
	s_and_saveexec_b64 s[0:1], vcc
	s_xor_b64 s[0:1], exec, s[0:1]
	s_cbranch_execz .LBB30_5
; %bb.4:                                ;   in Loop: Header=BB30_3 Depth=1
	v_xor_b32_e32 v15, v2, v3
	v_ffbh_i32_e32 v14, v3
	v_ashrrev_i32_e32 v15, 31, v15
	v_add_u32_e32 v14, -1, v14
	v_add_u32_e32 v15, 32, v15
	v_min_u32_e32 v16, v14, v15
	v_lshlrev_b64 v[14:15], v16, v[2:3]
	v_min_u32_e32 v14, 1, v14
	v_or_b32_e32 v14, v15, v14
	v_cvt_f32_i32_e32 v14, v14
	v_sub_u32_e32 v15, 32, v16
	v_ldexp_f32 v14, v14, v15
	v_fma_f32 v14, -s15, v14, v6
.LBB30_5:                               ;   in Loop: Header=BB30_3 Depth=1
	s_andn2_saveexec_b64 s[0:1], s[0:1]
	s_cbranch_execz .LBB30_2
; %bb.6:                                ;   in Loop: Header=BB30_3 Depth=1
	v_cvt_f32_i32_e32 v14, v0
	v_fma_f32 v14, s15, v14, v7
	s_branch .LBB30_2
.LBB30_7:
	s_endpgm
	.section	.rodata,"a",@progbits
	.p2align	6, 0x0
	.amdhsa_kernel _ZN12_GLOBAL__N_141elementwise_kernel_with_index_grid_strideIiZZZN2at6native17logspace_cuda_outERKN3c106ScalarES6_ldRNS1_6TensorEENKUlvE_clEvENKUlvE3_clEvEUllE_EEvT_T0_PN15function_traitsISD_E11result_typeE
		.amdhsa_group_segment_fixed_size 0
		.amdhsa_private_segment_fixed_size 0
		.amdhsa_kernarg_size 304
		.amdhsa_user_sgpr_count 2
		.amdhsa_user_sgpr_dispatch_ptr 0
		.amdhsa_user_sgpr_queue_ptr 0
		.amdhsa_user_sgpr_kernarg_segment_ptr 1
		.amdhsa_user_sgpr_dispatch_id 0
		.amdhsa_user_sgpr_kernarg_preload_length 0
		.amdhsa_user_sgpr_kernarg_preload_offset 0
		.amdhsa_user_sgpr_private_segment_size 0
		.amdhsa_uses_dynamic_stack 0
		.amdhsa_enable_private_segment 0
		.amdhsa_system_sgpr_workgroup_id_x 1
		.amdhsa_system_sgpr_workgroup_id_y 0
		.amdhsa_system_sgpr_workgroup_id_z 0
		.amdhsa_system_sgpr_workgroup_info 0
		.amdhsa_system_vgpr_workitem_id 0
		.amdhsa_next_free_vgpr 30
		.amdhsa_next_free_sgpr 26
		.amdhsa_accum_offset 32
		.amdhsa_reserve_vcc 1
		.amdhsa_float_round_mode_32 0
		.amdhsa_float_round_mode_16_64 0
		.amdhsa_float_denorm_mode_32 3
		.amdhsa_float_denorm_mode_16_64 3
		.amdhsa_dx10_clamp 1
		.amdhsa_ieee_mode 1
		.amdhsa_fp16_overflow 0
		.amdhsa_tg_split 0
		.amdhsa_exception_fp_ieee_invalid_op 0
		.amdhsa_exception_fp_denorm_src 0
		.amdhsa_exception_fp_ieee_div_zero 0
		.amdhsa_exception_fp_ieee_overflow 0
		.amdhsa_exception_fp_ieee_underflow 0
		.amdhsa_exception_fp_ieee_inexact 0
		.amdhsa_exception_int_div_zero 0
	.end_amdhsa_kernel
	.section	.text._ZN12_GLOBAL__N_141elementwise_kernel_with_index_grid_strideIiZZZN2at6native17logspace_cuda_outERKN3c106ScalarES6_ldRNS1_6TensorEENKUlvE_clEvENKUlvE3_clEvEUllE_EEvT_T0_PN15function_traitsISD_E11result_typeE,"axG",@progbits,_ZN12_GLOBAL__N_141elementwise_kernel_with_index_grid_strideIiZZZN2at6native17logspace_cuda_outERKN3c106ScalarES6_ldRNS1_6TensorEENKUlvE_clEvENKUlvE3_clEvEUllE_EEvT_T0_PN15function_traitsISD_E11result_typeE,comdat
.Lfunc_end30:
	.size	_ZN12_GLOBAL__N_141elementwise_kernel_with_index_grid_strideIiZZZN2at6native17logspace_cuda_outERKN3c106ScalarES6_ldRNS1_6TensorEENKUlvE_clEvENKUlvE3_clEvEUllE_EEvT_T0_PN15function_traitsISD_E11result_typeE, .Lfunc_end30-_ZN12_GLOBAL__N_141elementwise_kernel_with_index_grid_strideIiZZZN2at6native17logspace_cuda_outERKN3c106ScalarES6_ldRNS1_6TensorEENKUlvE_clEvENKUlvE3_clEvEUllE_EEvT_T0_PN15function_traitsISD_E11result_typeE
                                        ; -- End function
	.set _ZN12_GLOBAL__N_141elementwise_kernel_with_index_grid_strideIiZZZN2at6native17logspace_cuda_outERKN3c106ScalarES6_ldRNS1_6TensorEENKUlvE_clEvENKUlvE3_clEvEUllE_EEvT_T0_PN15function_traitsISD_E11result_typeE.num_vgpr, 30
	.set _ZN12_GLOBAL__N_141elementwise_kernel_with_index_grid_strideIiZZZN2at6native17logspace_cuda_outERKN3c106ScalarES6_ldRNS1_6TensorEENKUlvE_clEvENKUlvE3_clEvEUllE_EEvT_T0_PN15function_traitsISD_E11result_typeE.num_agpr, 0
	.set _ZN12_GLOBAL__N_141elementwise_kernel_with_index_grid_strideIiZZZN2at6native17logspace_cuda_outERKN3c106ScalarES6_ldRNS1_6TensorEENKUlvE_clEvENKUlvE3_clEvEUllE_EEvT_T0_PN15function_traitsISD_E11result_typeE.numbered_sgpr, 26
	.set _ZN12_GLOBAL__N_141elementwise_kernel_with_index_grid_strideIiZZZN2at6native17logspace_cuda_outERKN3c106ScalarES6_ldRNS1_6TensorEENKUlvE_clEvENKUlvE3_clEvEUllE_EEvT_T0_PN15function_traitsISD_E11result_typeE.num_named_barrier, 0
	.set _ZN12_GLOBAL__N_141elementwise_kernel_with_index_grid_strideIiZZZN2at6native17logspace_cuda_outERKN3c106ScalarES6_ldRNS1_6TensorEENKUlvE_clEvENKUlvE3_clEvEUllE_EEvT_T0_PN15function_traitsISD_E11result_typeE.private_seg_size, 0
	.set _ZN12_GLOBAL__N_141elementwise_kernel_with_index_grid_strideIiZZZN2at6native17logspace_cuda_outERKN3c106ScalarES6_ldRNS1_6TensorEENKUlvE_clEvENKUlvE3_clEvEUllE_EEvT_T0_PN15function_traitsISD_E11result_typeE.uses_vcc, 1
	.set _ZN12_GLOBAL__N_141elementwise_kernel_with_index_grid_strideIiZZZN2at6native17logspace_cuda_outERKN3c106ScalarES6_ldRNS1_6TensorEENKUlvE_clEvENKUlvE3_clEvEUllE_EEvT_T0_PN15function_traitsISD_E11result_typeE.uses_flat_scratch, 0
	.set _ZN12_GLOBAL__N_141elementwise_kernel_with_index_grid_strideIiZZZN2at6native17logspace_cuda_outERKN3c106ScalarES6_ldRNS1_6TensorEENKUlvE_clEvENKUlvE3_clEvEUllE_EEvT_T0_PN15function_traitsISD_E11result_typeE.has_dyn_sized_stack, 0
	.set _ZN12_GLOBAL__N_141elementwise_kernel_with_index_grid_strideIiZZZN2at6native17logspace_cuda_outERKN3c106ScalarES6_ldRNS1_6TensorEENKUlvE_clEvENKUlvE3_clEvEUllE_EEvT_T0_PN15function_traitsISD_E11result_typeE.has_recursion, 0
	.set _ZN12_GLOBAL__N_141elementwise_kernel_with_index_grid_strideIiZZZN2at6native17logspace_cuda_outERKN3c106ScalarES6_ldRNS1_6TensorEENKUlvE_clEvENKUlvE3_clEvEUllE_EEvT_T0_PN15function_traitsISD_E11result_typeE.has_indirect_call, 0
	.section	.AMDGPU.csdata,"",@progbits
; Kernel info:
; codeLenInByte = 1428
; TotalNumSgprs: 32
; NumVgprs: 30
; NumAgprs: 0
; TotalNumVgprs: 30
; ScratchSize: 0
; MemoryBound: 0
; FloatMode: 240
; IeeeMode: 1
; LDSByteSize: 0 bytes/workgroup (compile time only)
; SGPRBlocks: 3
; VGPRBlocks: 3
; NumSGPRsForWavesPerEU: 32
; NumVGPRsForWavesPerEU: 30
; AccumOffset: 32
; Occupancy: 8
; WaveLimiterHint : 0
; COMPUTE_PGM_RSRC2:SCRATCH_EN: 0
; COMPUTE_PGM_RSRC2:USER_SGPR: 2
; COMPUTE_PGM_RSRC2:TRAP_HANDLER: 0
; COMPUTE_PGM_RSRC2:TGID_X_EN: 1
; COMPUTE_PGM_RSRC2:TGID_Y_EN: 0
; COMPUTE_PGM_RSRC2:TGID_Z_EN: 0
; COMPUTE_PGM_RSRC2:TIDIG_COMP_CNT: 0
; COMPUTE_PGM_RSRC3_GFX90A:ACCUM_OFFSET: 7
; COMPUTE_PGM_RSRC3_GFX90A:TG_SPLIT: 0
	.section	.text._ZN12_GLOBAL__N_141elementwise_kernel_with_index_grid_strideIlZZZN2at6native17logspace_cuda_outERKN3c106ScalarES6_ldRNS1_6TensorEENKUlvE_clEvENKUlvE3_clEvEUllE_EEvT_T0_PN15function_traitsISD_E11result_typeE,"axG",@progbits,_ZN12_GLOBAL__N_141elementwise_kernel_with_index_grid_strideIlZZZN2at6native17logspace_cuda_outERKN3c106ScalarES6_ldRNS1_6TensorEENKUlvE_clEvENKUlvE3_clEvEUllE_EEvT_T0_PN15function_traitsISD_E11result_typeE,comdat
	.globl	_ZN12_GLOBAL__N_141elementwise_kernel_with_index_grid_strideIlZZZN2at6native17logspace_cuda_outERKN3c106ScalarES6_ldRNS1_6TensorEENKUlvE_clEvENKUlvE3_clEvEUllE_EEvT_T0_PN15function_traitsISD_E11result_typeE ; -- Begin function _ZN12_GLOBAL__N_141elementwise_kernel_with_index_grid_strideIlZZZN2at6native17logspace_cuda_outERKN3c106ScalarES6_ldRNS1_6TensorEENKUlvE_clEvENKUlvE3_clEvEUllE_EEvT_T0_PN15function_traitsISD_E11result_typeE
	.p2align	8
	.type	_ZN12_GLOBAL__N_141elementwise_kernel_with_index_grid_strideIlZZZN2at6native17logspace_cuda_outERKN3c106ScalarES6_ldRNS1_6TensorEENKUlvE_clEvENKUlvE3_clEvEUllE_EEvT_T0_PN15function_traitsISD_E11result_typeE,@function
_ZN12_GLOBAL__N_141elementwise_kernel_with_index_grid_strideIlZZZN2at6native17logspace_cuda_outERKN3c106ScalarES6_ldRNS1_6TensorEENKUlvE_clEvENKUlvE3_clEvEUllE_EEvT_T0_PN15function_traitsISD_E11result_typeE: ; @_ZN12_GLOBAL__N_141elementwise_kernel_with_index_grid_strideIlZZZN2at6native17logspace_cuda_outERKN3c106ScalarES6_ldRNS1_6TensorEENKUlvE_clEvENKUlvE3_clEvEUllE_EEvT_T0_PN15function_traitsISD_E11result_typeE
; %bb.0:
	s_load_dword s3, s[0:1], 0x3c
	s_load_dwordx2 s[8:9], s[0:1], 0x0
	s_add_u32 s10, s0, 48
	s_addc_u32 s11, s1, 0
	v_mov_b32_e32 v1, 0
	s_waitcnt lgkmcnt(0)
	s_and_b32 s3, s3, 0xffff
	v_mov_b32_e32 v2, s2
	v_mad_u64_u32 v[0:1], s[4:5], s3, v2, v[0:1]
	v_cmp_gt_i64_e32 vcc, s[8:9], v[0:1]
	s_and_saveexec_b64 s[4:5], vcc
	s_cbranch_execz .LBB31_7
; %bb.1:
	s_load_dwordx4 s[4:7], s[0:1], 0x20
	s_load_dword s2, s[10:11], 0x0
	s_load_dwordx4 s[20:23], s[0:1], 0x8
	s_load_dword s16, s[0:1], 0x18
	v_not_b32_e32 v3, v1
	s_waitcnt lgkmcnt(0)
	v_mov_b32_e32 v4, s6
	v_mov_b32_e32 v5, s7
	s_ashr_i32 s0, s20, 16
	v_cvt_f32_i32_e32 v6, s0
	s_sext_i32_i16 s0, s20
	v_cvt_f32_i32_e32 v7, s0
	s_mul_hi_u32 s7, s3, s2
	s_mul_i32 s6, s3, s2
	v_not_b32_e32 v2, v0
                                        ; implicit-def: $vgpr10
	v_cmp_eq_f32_e64 s[10:11], s21, 1.0
	v_lshl_add_u64 v[2:3], v[2:3], 0, s[22:23]
	v_lshl_add_u64 v[4:5], v[0:1], 1, v[4:5]
	s_lshl_b64 s[12:13], s[6:7], 1
	s_mov_b64 s[14:15], 0
	v_mov_b32_e32 v8, s21
	s_mov_b32 s17, 0x3f2aaaab
	v_mov_b32_e32 v9, 0x3e91f4c4
	s_mov_b32 s18, 0x3f317218
	s_movk_i32 s19, 0x204
	s_mov_b32 s20, 0x7f800000
	s_mov_b32 s21, 0x42b17218
	v_mov_b32_e32 v10, 0x37000000
	s_mov_b32 s22, 0x3fb8aa3b
	s_mov_b32 s23, 0xc2ce8ed0
	v_mov_b32_e32 v11, 0x7f800000
	s_brev_b32 s24, -2
	v_mov_b32_e32 v12, 0x7fc00000
	v_mov_b32_e32 v13, s7
	s_branch .LBB31_3
.LBB31_2:                               ;   in Loop: Header=BB31_3 Depth=1
	s_or_b64 exec, exec, s[0:1]
	v_cndmask_b32_e64 v28, v14, 1.0, s[10:11]
	v_cmp_neq_f32_e32 vcc, 0, v28
	v_cmp_neq_f32_e64 s[2:3], v28, |v28|
	v_lshl_add_u64 v[0:1], v[0:1], 0, s[6:7]
	v_cndmask_b32_e32 v29, 1.0, v8, vcc
	v_frexp_mant_f32_e64 v14, |v29|
	v_cmp_gt_f32_e32 vcc, s17, v14
	v_cmp_lt_f32_e64 s[26:27], |v29|, 1.0
	s_xor_b64 s[2:3], s[2:3], s[26:27]
	v_cndmask_b32_e64 v15, 1.0, 2.0, vcc
	v_mul_f32_e32 v14, v14, v15
	v_add_f32_e32 v17, 1.0, v14
	v_rcp_f32_e32 v22, v17
	v_add_f32_e32 v15, -1.0, v17
	v_sub_f32_e32 v19, v14, v15
	v_add_f32_e32 v15, -1.0, v14
	v_mul_f32_e32 v23, v15, v22
	v_mul_f32_e32 v16, v17, v23
	v_fma_f32 v18, v23, v17, -v16
	v_fmac_f32_e32 v18, v23, v19
	v_add_f32_e32 v14, v16, v18
	v_sub_f32_e32 v17, v15, v14
	v_pk_add_f32 v[20:21], v[14:15], v[16:17] neg_lo:[0,1] neg_hi:[0,1]
	v_mov_b32_e32 v19, v14
	v_pk_add_f32 v[14:15], v[20:21], v[18:19] neg_lo:[0,1] neg_hi:[0,1]
	v_cmp_class_f32_e64 s[26:27], v29, s19
	v_add_f32_e32 v14, v14, v15
	v_add_f32_e32 v14, v17, v14
	v_mul_f32_e32 v15, v22, v14
	v_add_f32_e32 v14, v23, v15
	v_sub_f32_e32 v16, v14, v23
	v_sub_f32_e32 v24, v15, v16
	v_mul_f32_e32 v15, v14, v14
	v_fma_f32 v17, v14, v14, -v15
	v_add_f32_e32 v16, v24, v24
	v_fmac_f32_e32 v17, v14, v16
	v_add_f32_e32 v16, v15, v17
	v_fmamk_f32 v18, v16, 0x3e76c4e1, v9
	v_fmaak_f32 v18, v16, v18, 0x3ecccdef
	v_sub_f32_e32 v15, v16, v15
	v_sub_f32_e32 v25, v17, v15
	v_mul_f32_e32 v15, v16, v18
	v_fma_f32 v17, v16, v18, -v15
	v_fmac_f32_e32 v17, v25, v18
	v_add_f32_e32 v18, v15, v17
	v_add_f32_e32 v19, 0x3f2aaaaa, v18
	v_sub_f32_e32 v15, v18, v15
	v_sub_f32_e32 v15, v17, v15
	v_add_f32_e32 v17, 0xbf2aaaaa, v19
	v_add_f32_e32 v15, 0x31739010, v15
	v_sub_f32_e32 v17, v18, v17
	v_pk_mul_f32 v[20:21], v[14:15], v[16:17]
	v_pk_add_f32 v[22:23], v[14:15], v[16:17]
	v_fma_f32 v18, v16, v14, -v20
	v_fmac_f32_e32 v18, v16, v24
	v_mov_b32_e32 v21, v23
	v_fmac_f32_e32 v18, v25, v14
	v_pk_add_f32 v[16:17], v[20:21], v[18:19]
	v_ldexp_f32 v26, v24, 1
	v_sub_f32_e32 v15, v16, v20
	v_sub_f32_e32 v15, v18, v15
	;; [unrolled: 1-line block ×3, first 2 shown]
	v_add_f32_e32 v22, v23, v18
	v_pk_mul_f32 v[18:19], v[16:17], v[16:17] op_sel:[0,1] op_sel_hi:[1,0]
	v_cvt_f64_f32_e64 v[20:21], |v29|
	v_frexp_exp_i32_f64_e32 v19, v[20:21]
	v_subbrev_co_u32_e32 v19, vcc, 0, v19, vcc
	v_cvt_f32_i32_e32 v19, v19
	v_fma_f32 v20, v16, v17, -v18
	v_fmac_f32_e32 v20, v16, v22
	v_fmac_f32_e32 v20, v15, v17
	v_mul_f32_e32 v16, 0x3f317218, v19
	v_fma_f32 v22, v19, s18, -v16
	v_fmac_f32_e32 v22, 0xb102e308, v19
	v_ldexp_f32 v23, v14, 1
	v_add_f32_e32 v17, v18, v20
	v_pk_add_f32 v[14:15], v[16:17], v[22:23]
	v_mov_b32_e32 v24, v17
	v_mov_b32_e32 v25, v15
	v_mov_b32_e32 v19, v23
	v_pk_add_f32 v[18:19], v[24:25], v[18:19] neg_lo:[0,1] neg_hi:[0,1]
	v_mov_b32_e32 v21, v17
	v_pk_add_f32 v[18:19], v[20:21], v[18:19] neg_lo:[0,1] neg_hi:[0,1]
	v_mov_b32_e32 v23, v14
	v_add_f32_e32 v17, v26, v18
	v_add_f32_e32 v17, v17, v19
	v_pk_add_f32 v[18:19], v[14:15], v[16:17] neg_lo:[0,1] neg_hi:[0,1]
	v_pk_add_f32 v[20:21], v[14:15], v[16:17]
	v_mov_b32_e32 v16, v17
	v_mov_b32_e32 v19, v21
	v_pk_add_f32 v[24:25], v[22:23], v[18:19] neg_lo:[0,1] neg_hi:[0,1]
	v_pk_add_f32 v[18:19], v[22:23], v[18:19]
	v_mov_b32_e32 v17, v14
	v_pk_add_f32 v[22:23], v[18:19], v[14:15] op_sel:[1,0] op_sel_hi:[0,1] neg_lo:[0,1] neg_hi:[0,1]
	v_pk_add_f32 v[26:27], v[20:21], v[22:23] op_sel_hi:[1,0] neg_lo:[0,1] neg_hi:[0,1]
	v_mov_b32_e32 v20, v21
	v_mov_b32_e32 v21, v19
	v_pk_mov_b32 v[22:23], v[14:15], v[22:23] op_sel:[1,0]
	v_mov_b32_e32 v26, v24
	v_pk_add_f32 v[20:21], v[20:21], v[22:23] neg_lo:[0,1] neg_hi:[0,1]
	v_mov_b32_e32 v25, v19
	v_pk_add_f32 v[14:15], v[16:17], v[20:21] neg_lo:[0,1] neg_hi:[0,1]
	s_nop 0
	v_pk_add_f32 v[16:17], v[26:27], v[14:15]
	s_nop 0
	v_pk_add_f32 v[20:21], v[16:17], v[16:17] op_sel:[0,1] op_sel_hi:[1,0]
	s_nop 0
	v_pk_add_f32 v[18:19], v[18:19], v[20:21] op_sel:[1,0] op_sel_hi:[0,1]
	v_mov_b32_e32 v17, v18
	v_pk_add_f32 v[22:23], v[16:17], v[24:25] neg_lo:[0,1] neg_hi:[0,1]
	v_mov_b32_e32 v15, v20
	v_sub_f32_e32 v16, v16, v22
	v_pk_add_f32 v[14:15], v[14:15], v[22:23] neg_lo:[0,1] neg_hi:[0,1]
	v_sub_f32_e32 v16, v24, v16
	v_add_f32_e32 v14, v14, v16
	v_add_f32_e32 v14, v14, v15
	v_add_f32_e32 v15, v18, v14
	v_sub_f32_e32 v16, v15, v18
	v_sub_f32_e32 v14, v14, v16
	v_mul_f32_e32 v16, v28, v15
	v_fma_f32 v15, v28, v15, -v16
	v_fmac_f32_e32 v15, v28, v14
	v_add_f32_e32 v14, v16, v15
	v_cmp_class_f32_e64 vcc, v16, s19
	v_sub_f32_e32 v17, v14, v16
	v_sub_f32_e32 v15, v15, v17
	v_cndmask_b32_e32 v14, v14, v16, vcc
	v_cmp_eq_f32_e32 vcc, s21, v14
	s_nop 1
	v_cndmask_b32_e32 v16, 0, v10, vcc
	v_sub_f32_e32 v17, v14, v16
	v_mul_f32_e32 v18, 0x3fb8aa3b, v17
	v_fma_f32 v19, v17, s22, -v18
	v_rndne_f32_e32 v20, v18
	v_fmac_f32_e32 v19, 0x32a5705f, v17
	v_sub_f32_e32 v18, v18, v20
	v_add_f32_e32 v18, v18, v19
	v_exp_f32_e32 v18, v18
	v_cvt_i32_f32_e32 v19, v20
	v_cmp_neq_f32_e64 vcc, |v14|, s20
	s_nop 1
	v_cndmask_b32_e32 v14, 0, v15, vcc
	v_ldexp_f32 v15, v18, v19
	v_cmp_ngt_f32_e32 vcc, s23, v17
	v_add_f32_e32 v14, v16, v14
	s_nop 0
	v_cndmask_b32_e32 v15, 0, v15, vcc
	v_cmp_nlt_f32_e32 vcc, s21, v17
	s_nop 1
	v_cndmask_b32_e32 v15, v11, v15, vcc
	v_fma_f32 v14, v15, v14, v15
	v_cmp_class_f32_e64 vcc, v15, s19
	s_nop 1
	v_cndmask_b32_e32 v14, v14, v15, vcc
	v_trunc_f32_e32 v15, v28
	v_cmp_eq_f32_e32 vcc, v15, v28
	v_mul_f32_e32 v15, 0.5, v28
	v_trunc_f32_e32 v16, v15
	v_cmp_neq_f32_e64 s[0:1], v16, v15
	s_and_b64 s[0:1], vcc, s[0:1]
	s_nop 0
	v_cndmask_b32_e64 v15, 1.0, v29, s[0:1]
	v_bfi_b32 v14, s24, v14, v15
	v_cndmask_b32_e32 v15, v12, v14, vcc
	v_cmp_gt_f32_e32 vcc, 0, v29
	v_cndmask_b32_e64 v16, 0, v29, s[0:1]
	s_nop 0
	v_cndmask_b32_e32 v14, v14, v15, vcc
	v_cndmask_b32_e64 v15, v11, 0, s[2:3]
	v_cmp_neq_f32_e64 vcc, |v29|, 1.0
	v_cmp_gt_f32_e64 s[2:3], 0, v28
	s_nop 0
	v_cndmask_b32_e32 v15, 1.0, v15, vcc
	v_cmp_class_f32_e64 vcc, v28, s19
	s_nop 1
	v_cndmask_b32_e32 v14, v14, v15, vcc
	v_cmp_eq_f32_e32 vcc, 0, v29
	s_xor_b64 s[2:3], s[2:3], vcc
	v_cndmask_b32_e64 v15, v11, 0, s[2:3]
	v_bfi_b32 v15, s24, v15, v16
	s_or_b64 vcc, vcc, s[26:27]
	v_cndmask_b32_e32 v14, v14, v15, vcc
	v_cmp_o_f32_e32 vcc, v29, v28
	s_nop 1
	v_cndmask_b32_e32 v14, v12, v14, vcc
	v_cvt_i32_f32_e32 v14, v14
	v_subrev_co_u32_e32 v2, vcc, s6, v2
	global_store_short v[4:5], v14, off
	s_nop 0
	v_subb_co_u32_e32 v3, vcc, v3, v13, vcc
	v_cmp_le_i64_e32 vcc, s[8:9], v[0:1]
	s_or_b64 s[14:15], vcc, s[14:15]
	v_lshl_add_u64 v[4:5], v[4:5], 0, s[12:13]
	s_andn2_b64 exec, exec, s[14:15]
	s_cbranch_execz .LBB31_7
.LBB31_3:                               ; =>This Inner Loop Header: Depth=1
	v_cmp_le_i64_e32 vcc, s[4:5], v[0:1]
                                        ; implicit-def: $vgpr14
	s_and_saveexec_b64 s[0:1], vcc
	s_xor_b64 s[0:1], exec, s[0:1]
	s_cbranch_execz .LBB31_5
; %bb.4:                                ;   in Loop: Header=BB31_3 Depth=1
	v_xor_b32_e32 v15, v2, v3
	v_ffbh_i32_e32 v14, v3
	v_ashrrev_i32_e32 v15, 31, v15
	v_add_u32_e32 v14, -1, v14
	v_add_u32_e32 v15, 32, v15
	v_min_u32_e32 v16, v14, v15
	v_lshlrev_b64 v[14:15], v16, v[2:3]
	v_min_u32_e32 v14, 1, v14
	v_or_b32_e32 v14, v15, v14
	v_cvt_f32_i32_e32 v14, v14
	v_sub_u32_e32 v15, 32, v16
	v_ldexp_f32 v14, v14, v15
	v_fma_f32 v14, -s16, v14, v6
.LBB31_5:                               ;   in Loop: Header=BB31_3 Depth=1
	s_andn2_saveexec_b64 s[0:1], s[0:1]
	s_cbranch_execz .LBB31_2
; %bb.6:                                ;   in Loop: Header=BB31_3 Depth=1
	v_ffbh_u32_e32 v14, v1
	v_min_u32_e32 v16, 32, v14
	v_lshlrev_b64 v[14:15], v16, v[0:1]
	v_min_u32_e32 v14, 1, v14
	v_or_b32_e32 v14, v15, v14
	v_cvt_f32_u32_e32 v14, v14
	v_sub_u32_e32 v15, 32, v16
	v_ldexp_f32 v14, v14, v15
	v_fma_f32 v14, s16, v14, v7
	s_branch .LBB31_2
.LBB31_7:
	s_endpgm
	.section	.rodata,"a",@progbits
	.p2align	6, 0x0
	.amdhsa_kernel _ZN12_GLOBAL__N_141elementwise_kernel_with_index_grid_strideIlZZZN2at6native17logspace_cuda_outERKN3c106ScalarES6_ldRNS1_6TensorEENKUlvE_clEvENKUlvE3_clEvEUllE_EEvT_T0_PN15function_traitsISD_E11result_typeE
		.amdhsa_group_segment_fixed_size 0
		.amdhsa_private_segment_fixed_size 0
		.amdhsa_kernarg_size 304
		.amdhsa_user_sgpr_count 2
		.amdhsa_user_sgpr_dispatch_ptr 0
		.amdhsa_user_sgpr_queue_ptr 0
		.amdhsa_user_sgpr_kernarg_segment_ptr 1
		.amdhsa_user_sgpr_dispatch_id 0
		.amdhsa_user_sgpr_kernarg_preload_length 0
		.amdhsa_user_sgpr_kernarg_preload_offset 0
		.amdhsa_user_sgpr_private_segment_size 0
		.amdhsa_uses_dynamic_stack 0
		.amdhsa_enable_private_segment 0
		.amdhsa_system_sgpr_workgroup_id_x 1
		.amdhsa_system_sgpr_workgroup_id_y 0
		.amdhsa_system_sgpr_workgroup_id_z 0
		.amdhsa_system_sgpr_workgroup_info 0
		.amdhsa_system_vgpr_workitem_id 0
		.amdhsa_next_free_vgpr 30
		.amdhsa_next_free_sgpr 28
		.amdhsa_accum_offset 32
		.amdhsa_reserve_vcc 1
		.amdhsa_float_round_mode_32 0
		.amdhsa_float_round_mode_16_64 0
		.amdhsa_float_denorm_mode_32 3
		.amdhsa_float_denorm_mode_16_64 3
		.amdhsa_dx10_clamp 1
		.amdhsa_ieee_mode 1
		.amdhsa_fp16_overflow 0
		.amdhsa_tg_split 0
		.amdhsa_exception_fp_ieee_invalid_op 0
		.amdhsa_exception_fp_denorm_src 0
		.amdhsa_exception_fp_ieee_div_zero 0
		.amdhsa_exception_fp_ieee_overflow 0
		.amdhsa_exception_fp_ieee_underflow 0
		.amdhsa_exception_fp_ieee_inexact 0
		.amdhsa_exception_int_div_zero 0
	.end_amdhsa_kernel
	.section	.text._ZN12_GLOBAL__N_141elementwise_kernel_with_index_grid_strideIlZZZN2at6native17logspace_cuda_outERKN3c106ScalarES6_ldRNS1_6TensorEENKUlvE_clEvENKUlvE3_clEvEUllE_EEvT_T0_PN15function_traitsISD_E11result_typeE,"axG",@progbits,_ZN12_GLOBAL__N_141elementwise_kernel_with_index_grid_strideIlZZZN2at6native17logspace_cuda_outERKN3c106ScalarES6_ldRNS1_6TensorEENKUlvE_clEvENKUlvE3_clEvEUllE_EEvT_T0_PN15function_traitsISD_E11result_typeE,comdat
.Lfunc_end31:
	.size	_ZN12_GLOBAL__N_141elementwise_kernel_with_index_grid_strideIlZZZN2at6native17logspace_cuda_outERKN3c106ScalarES6_ldRNS1_6TensorEENKUlvE_clEvENKUlvE3_clEvEUllE_EEvT_T0_PN15function_traitsISD_E11result_typeE, .Lfunc_end31-_ZN12_GLOBAL__N_141elementwise_kernel_with_index_grid_strideIlZZZN2at6native17logspace_cuda_outERKN3c106ScalarES6_ldRNS1_6TensorEENKUlvE_clEvENKUlvE3_clEvEUllE_EEvT_T0_PN15function_traitsISD_E11result_typeE
                                        ; -- End function
	.set _ZN12_GLOBAL__N_141elementwise_kernel_with_index_grid_strideIlZZZN2at6native17logspace_cuda_outERKN3c106ScalarES6_ldRNS1_6TensorEENKUlvE_clEvENKUlvE3_clEvEUllE_EEvT_T0_PN15function_traitsISD_E11result_typeE.num_vgpr, 30
	.set _ZN12_GLOBAL__N_141elementwise_kernel_with_index_grid_strideIlZZZN2at6native17logspace_cuda_outERKN3c106ScalarES6_ldRNS1_6TensorEENKUlvE_clEvENKUlvE3_clEvEUllE_EEvT_T0_PN15function_traitsISD_E11result_typeE.num_agpr, 0
	.set _ZN12_GLOBAL__N_141elementwise_kernel_with_index_grid_strideIlZZZN2at6native17logspace_cuda_outERKN3c106ScalarES6_ldRNS1_6TensorEENKUlvE_clEvENKUlvE3_clEvEUllE_EEvT_T0_PN15function_traitsISD_E11result_typeE.numbered_sgpr, 28
	.set _ZN12_GLOBAL__N_141elementwise_kernel_with_index_grid_strideIlZZZN2at6native17logspace_cuda_outERKN3c106ScalarES6_ldRNS1_6TensorEENKUlvE_clEvENKUlvE3_clEvEUllE_EEvT_T0_PN15function_traitsISD_E11result_typeE.num_named_barrier, 0
	.set _ZN12_GLOBAL__N_141elementwise_kernel_with_index_grid_strideIlZZZN2at6native17logspace_cuda_outERKN3c106ScalarES6_ldRNS1_6TensorEENKUlvE_clEvENKUlvE3_clEvEUllE_EEvT_T0_PN15function_traitsISD_E11result_typeE.private_seg_size, 0
	.set _ZN12_GLOBAL__N_141elementwise_kernel_with_index_grid_strideIlZZZN2at6native17logspace_cuda_outERKN3c106ScalarES6_ldRNS1_6TensorEENKUlvE_clEvENKUlvE3_clEvEUllE_EEvT_T0_PN15function_traitsISD_E11result_typeE.uses_vcc, 1
	.set _ZN12_GLOBAL__N_141elementwise_kernel_with_index_grid_strideIlZZZN2at6native17logspace_cuda_outERKN3c106ScalarES6_ldRNS1_6TensorEENKUlvE_clEvENKUlvE3_clEvEUllE_EEvT_T0_PN15function_traitsISD_E11result_typeE.uses_flat_scratch, 0
	.set _ZN12_GLOBAL__N_141elementwise_kernel_with_index_grid_strideIlZZZN2at6native17logspace_cuda_outERKN3c106ScalarES6_ldRNS1_6TensorEENKUlvE_clEvENKUlvE3_clEvEUllE_EEvT_T0_PN15function_traitsISD_E11result_typeE.has_dyn_sized_stack, 0
	.set _ZN12_GLOBAL__N_141elementwise_kernel_with_index_grid_strideIlZZZN2at6native17logspace_cuda_outERKN3c106ScalarES6_ldRNS1_6TensorEENKUlvE_clEvENKUlvE3_clEvEUllE_EEvT_T0_PN15function_traitsISD_E11result_typeE.has_recursion, 0
	.set _ZN12_GLOBAL__N_141elementwise_kernel_with_index_grid_strideIlZZZN2at6native17logspace_cuda_outERKN3c106ScalarES6_ldRNS1_6TensorEENKUlvE_clEvENKUlvE3_clEvEUllE_EEvT_T0_PN15function_traitsISD_E11result_typeE.has_indirect_call, 0
	.section	.AMDGPU.csdata,"",@progbits
; Kernel info:
; codeLenInByte = 1468
; TotalNumSgprs: 34
; NumVgprs: 30
; NumAgprs: 0
; TotalNumVgprs: 30
; ScratchSize: 0
; MemoryBound: 0
; FloatMode: 240
; IeeeMode: 1
; LDSByteSize: 0 bytes/workgroup (compile time only)
; SGPRBlocks: 4
; VGPRBlocks: 3
; NumSGPRsForWavesPerEU: 34
; NumVGPRsForWavesPerEU: 30
; AccumOffset: 32
; Occupancy: 8
; WaveLimiterHint : 0
; COMPUTE_PGM_RSRC2:SCRATCH_EN: 0
; COMPUTE_PGM_RSRC2:USER_SGPR: 2
; COMPUTE_PGM_RSRC2:TRAP_HANDLER: 0
; COMPUTE_PGM_RSRC2:TGID_X_EN: 1
; COMPUTE_PGM_RSRC2:TGID_Y_EN: 0
; COMPUTE_PGM_RSRC2:TGID_Z_EN: 0
; COMPUTE_PGM_RSRC2:TIDIG_COMP_CNT: 0
; COMPUTE_PGM_RSRC3_GFX90A:ACCUM_OFFSET: 7
; COMPUTE_PGM_RSRC3_GFX90A:TG_SPLIT: 0
	.section	.text._ZN12_GLOBAL__N_141elementwise_kernel_with_index_grid_strideIiZZZN2at6native17logspace_cuda_outERKN3c106ScalarES6_ldRNS1_6TensorEENKUlvE0_clEvENKUlvE_clEvEUllE_EEvT_T0_PN15function_traitsISD_E11result_typeE,"axG",@progbits,_ZN12_GLOBAL__N_141elementwise_kernel_with_index_grid_strideIiZZZN2at6native17logspace_cuda_outERKN3c106ScalarES6_ldRNS1_6TensorEENKUlvE0_clEvENKUlvE_clEvEUllE_EEvT_T0_PN15function_traitsISD_E11result_typeE,comdat
	.globl	_ZN12_GLOBAL__N_141elementwise_kernel_with_index_grid_strideIiZZZN2at6native17logspace_cuda_outERKN3c106ScalarES6_ldRNS1_6TensorEENKUlvE0_clEvENKUlvE_clEvEUllE_EEvT_T0_PN15function_traitsISD_E11result_typeE ; -- Begin function _ZN12_GLOBAL__N_141elementwise_kernel_with_index_grid_strideIiZZZN2at6native17logspace_cuda_outERKN3c106ScalarES6_ldRNS1_6TensorEENKUlvE0_clEvENKUlvE_clEvEUllE_EEvT_T0_PN15function_traitsISD_E11result_typeE
	.p2align	8
	.type	_ZN12_GLOBAL__N_141elementwise_kernel_with_index_grid_strideIiZZZN2at6native17logspace_cuda_outERKN3c106ScalarES6_ldRNS1_6TensorEENKUlvE0_clEvENKUlvE_clEvEUllE_EEvT_T0_PN15function_traitsISD_E11result_typeE,@function
_ZN12_GLOBAL__N_141elementwise_kernel_with_index_grid_strideIiZZZN2at6native17logspace_cuda_outERKN3c106ScalarES6_ldRNS1_6TensorEENKUlvE0_clEvENKUlvE_clEvEUllE_EEvT_T0_PN15function_traitsISD_E11result_typeE: ; @_ZN12_GLOBAL__N_141elementwise_kernel_with_index_grid_strideIiZZZN2at6native17logspace_cuda_outERKN3c106ScalarES6_ldRNS1_6TensorEENKUlvE0_clEvENKUlvE_clEvEUllE_EEvT_T0_PN15function_traitsISD_E11result_typeE
; %bb.0:
	s_load_dword s3, s[0:1], 0x4c
	s_load_dword s33, s[0:1], 0x0
	s_add_u32 s4, s0, 64
	s_addc_u32 s5, s1, 0
	s_waitcnt lgkmcnt(0)
	s_and_b32 s3, s3, 0xffff
	s_mul_i32 s2, s2, s3
	v_add_u32_e32 v0, s2, v0
	v_cmp_gt_i32_e32 vcc, s33, v0
	s_and_saveexec_b64 s[6:7], vcc
	s_cbranch_execz .LBB32_7
; %bb.1:
	s_load_dword s2, s[4:5], 0x0
	s_load_dwordx8 s[8:15], s[0:1], 0x8
	s_load_dwordx4 s[16:19], s[0:1], 0x28
	s_load_dwordx2 s[6:7], s[0:1], 0x38
	v_ashrrev_i32_e32 v1, 31, v0
	s_waitcnt lgkmcnt(0)
	s_mul_i32 s20, s2, s3
	v_cmp_eq_f64_e64 vcc, s[12:13], 1.0
	v_not_b32_e32 v3, v1
	v_not_b32_e32 v2, v0
	s_ashr_i32 s21, s20, 31
	v_mov_b32_e32 v45, s13
	v_mov_b32_e32 v46, s12
	s_mov_b32 s12, 0x55555555
	s_mov_b32 s24, 0x4222de17
	;; [unrolled: 1-line block ×10, first 2 shown]
	v_lshl_add_u64 v[2:3], v[2:3], 0, s[14:15]
	v_lshl_add_u64 v[4:5], v[0:1], 3, s[6:7]
	s_lshl_b64 s[14:15], s[20:21], 3
	s_mov_b64 s[22:23], 0
	v_mov_b32_e32 v44, 0x3ff00000
	s_mov_b32 s13, 0x3fe55555
	v_mov_b32_e32 v6, 0x968915a9
	v_mov_b32_e32 v7, 0x3fba6564
	s_mov_b32 s25, 0x3fbdee67
	v_mov_b32_e32 v8, 0x3abe935a
	v_mov_b32_e32 v9, 0x3fbe25e4
	;; [unrolled: 1-line block ×14, first 2 shown]
	s_mov_b32 s27, 0x3fe62e42
	s_mov_b32 s29, 0x3c7abc9e
	;; [unrolled: 1-line block ×4, first 2 shown]
	s_movk_i32 s50, 0x204
	s_mov_b32 s37, 0x7ff00000
	s_mov_b32 s39, 0x3ff71547
	;; [unrolled: 1-line block ×4, first 2 shown]
	v_mov_b32_e32 v22, 0xfca7ab0c
	v_mov_b32_e32 v23, 0x3e928af3
	s_mov_b32 s45, 0x3e5ade15
	v_mov_b32_e32 v24, 0x623fde64
	v_mov_b32_e32 v25, 0x3ec71dee
	;; [unrolled: 1-line block ×6, first 2 shown]
	s_mov_b32 s47, 0x40900000
	s_mov_b32 s49, 0xc090cc00
	s_brev_b32 s51, -2
	s_mov_b32 s30, s12
	s_mov_b32 s40, s26
	;; [unrolled: 1-line block ×3, first 2 shown]
	v_mov_b32_e32 v30, 0x1852b7b0
	v_mov_b32_e32 v31, 0x3f56c16c
	;; [unrolled: 1-line block ×12, first 2 shown]
	s_branch .LBB32_3
.LBB32_2:                               ;   in Loop: Header=BB32_3 Depth=1
	s_or_b64 exec, exec, s[0:1]
	v_cndmask_b32_e32 v41, v41, v44, vcc
	v_cndmask_b32_e64 v40, v40, 0, vcc
	v_cmp_neq_f64_e64 s[0:1], 0, v[40:41]
	v_cmp_gt_f64_e64 s[6:7], 0, v[40:41]
	v_lshl_add_u64 v[0:1], v[0:1], 0, s[20:21]
	v_cndmask_b32_e64 v43, v44, v45, s[0:1]
	v_cndmask_b32_e64 v42, 0, v46, s[0:1]
	v_frexp_mant_f64_e64 v[50:51], |v[42:43]|
	v_cmp_gt_f64_e64 s[0:1], s[12:13], v[50:51]
	v_cmp_class_f64_e64 s[52:53], v[42:43], s50
	s_nop 0
	v_cndmask_b32_e64 v49, 0, 1, s[0:1]
	v_ldexp_f64 v[50:51], v[50:51], v49
	v_add_f64 v[52:53], v[50:51], 1.0
	v_rcp_f64_e32 v[54:55], v[52:53]
	v_frexp_exp_i32_f64_e32 v49, v[42:43]
	v_subbrev_co_u32_e64 v49, s[0:1], 0, v49, s[0:1]
	v_fma_f64 v[56:57], -v[52:53], v[54:55], 1.0
	v_fmac_f64_e32 v[54:55], v[56:57], v[54:55]
	v_fma_f64 v[56:57], -v[52:53], v[54:55], 1.0
	v_fmac_f64_e32 v[54:55], v[56:57], v[54:55]
	v_add_f64 v[56:57], v[52:53], -1.0
	v_add_f64 v[56:57], v[50:51], -v[56:57]
	v_add_f64 v[50:51], v[50:51], -1.0
	v_mul_f64 v[58:59], v[50:51], v[54:55]
	v_mul_f64 v[60:61], v[52:53], v[58:59]
	v_fma_f64 v[52:53], v[58:59], v[52:53], -v[60:61]
	v_fmac_f64_e32 v[52:53], v[58:59], v[56:57]
	v_add_f64 v[56:57], v[60:61], v[52:53]
	v_add_f64 v[62:63], v[50:51], -v[56:57]
	v_add_f64 v[60:61], v[56:57], -v[60:61]
	;; [unrolled: 1-line block ×5, first 2 shown]
	v_add_f64 v[50:51], v[52:53], v[50:51]
	v_add_f64 v[50:51], v[62:63], v[50:51]
	v_mul_f64 v[50:51], v[54:55], v[50:51]
	v_add_f64 v[52:53], v[58:59], v[50:51]
	v_add_f64 v[54:55], v[52:53], -v[58:59]
	v_add_f64 v[50:51], v[50:51], -v[54:55]
	v_mul_f64 v[54:55], v[52:53], v[52:53]
	v_fma_f64 v[56:57], v[52:53], v[52:53], -v[54:55]
	v_add_f64 v[58:59], v[50:51], v[50:51]
	v_fmac_f64_e32 v[56:57], v[52:53], v[58:59]
	v_add_f64 v[58:59], v[54:55], v[56:57]
	v_add_f64 v[54:55], v[58:59], -v[54:55]
	v_add_f64 v[54:55], v[56:57], -v[54:55]
	v_fma_f64 v[56:57], s[24:25], v[58:59], v[6:7]
	v_fma_f64 v[56:57], v[58:59], v[56:57], v[8:9]
	;; [unrolled: 1-line block ×8, first 2 shown]
	v_mul_f64 v[60:61], v[52:53], v[58:59]
	v_fma_f64 v[62:63], v[58:59], v[52:53], -v[60:61]
	v_mul_f64 v[64:65], v[58:59], v[56:57]
	v_fmac_f64_e32 v[62:63], v[58:59], v[50:51]
	v_fma_f64 v[58:59], v[58:59], v[56:57], -v[64:65]
	v_fmac_f64_e32 v[58:59], v[54:55], v[56:57]
	v_fmac_f64_e32 v[62:63], v[54:55], v[52:53]
	v_add_f64 v[54:55], v[64:65], v[58:59]
	v_add_f64 v[56:57], v[54:55], -v[64:65]
	v_add_f64 v[56:57], v[58:59], -v[56:57]
	v_add_f64 v[58:59], v[54:55], s[12:13]
	v_add_f64 v[64:65], v[58:59], s[30:31]
	v_add_f64 v[54:55], v[54:55], -v[64:65]
	v_add_f64 v[56:57], v[56:57], s[34:35]
	v_add_f64 v[54:55], v[56:57], v[54:55]
	;; [unrolled: 1-line block ×3, first 2 shown]
	v_add_f64 v[58:59], v[58:59], -v[56:57]
	v_add_f64 v[54:55], v[54:55], v[58:59]
	v_add_f64 v[58:59], v[60:61], v[62:63]
	v_mul_f64 v[64:65], v[58:59], v[56:57]
	v_fma_f64 v[66:67], v[58:59], v[56:57], -v[64:65]
	v_fmac_f64_e32 v[66:67], v[58:59], v[54:55]
	v_add_f64 v[54:55], v[58:59], -v[60:61]
	v_add_f64 v[54:55], v[62:63], -v[54:55]
	v_fmac_f64_e32 v[66:67], v[54:55], v[56:57]
	v_mul_f64 v[54:55], v[40:41], 0.5
	v_trunc_f64_e32 v[56:57], v[54:55]
	v_cmp_neq_f64_e64 s[2:3], v[56:57], v[54:55]
	v_cvt_f64_i32_e32 v[54:55], v49
	v_mul_f64 v[56:57], v[54:55], s[26:27]
	v_fma_f64 v[58:59], v[54:55], s[26:27], -v[56:57]
	v_fmac_f64_e32 v[58:59], s[28:29], v[54:55]
	v_add_f64 v[54:55], v[56:57], v[58:59]
	v_add_f64 v[56:57], v[54:55], -v[56:57]
	v_add_f64 v[56:57], v[58:59], -v[56:57]
	v_add_f64 v[58:59], v[64:65], v[66:67]
	v_ldexp_f64 v[52:53], v[52:53], 1
	v_add_f64 v[60:61], v[58:59], -v[64:65]
	v_add_f64 v[62:63], v[52:53], v[58:59]
	v_add_f64 v[60:61], v[66:67], -v[60:61]
	v_add_f64 v[52:53], v[62:63], -v[52:53]
	v_ldexp_f64 v[50:51], v[50:51], 1
	v_add_f64 v[52:53], v[58:59], -v[52:53]
	v_add_f64 v[50:51], v[50:51], v[60:61]
	v_add_f64 v[50:51], v[50:51], v[52:53]
	v_add_f64 v[52:53], v[62:63], v[50:51]
	v_add_f64 v[58:59], v[52:53], -v[62:63]
	v_add_f64 v[50:51], v[50:51], -v[58:59]
	v_add_f64 v[58:59], v[54:55], v[52:53]
	v_add_f64 v[60:61], v[58:59], -v[54:55]
	v_add_f64 v[62:63], v[58:59], -v[60:61]
	;; [unrolled: 1-line block ×4, first 2 shown]
	v_add_f64 v[52:53], v[52:53], v[54:55]
	v_add_f64 v[54:55], v[56:57], v[50:51]
	v_add_f64 v[60:61], v[54:55], -v[56:57]
	v_add_f64 v[62:63], v[54:55], -v[60:61]
	v_add_f64 v[52:53], v[54:55], v[52:53]
	v_add_f64 v[56:57], v[56:57], -v[62:63]
	v_add_f64 v[50:51], v[50:51], -v[60:61]
	v_add_f64 v[54:55], v[58:59], v[52:53]
	v_add_f64 v[50:51], v[50:51], v[56:57]
	v_add_f64 v[56:57], v[54:55], -v[58:59]
	v_add_f64 v[52:53], v[52:53], -v[56:57]
	v_add_f64 v[50:51], v[50:51], v[52:53]
	v_add_f64 v[52:53], v[54:55], v[50:51]
	v_add_f64 v[54:55], v[52:53], -v[54:55]
	v_add_f64 v[50:51], v[50:51], -v[54:55]
	v_mul_f64 v[54:55], v[40:41], v[52:53]
	v_fma_f64 v[52:53], v[40:41], v[52:53], -v[54:55]
	v_fmac_f64_e32 v[52:53], v[40:41], v[50:51]
	v_add_f64 v[50:51], v[54:55], v[52:53]
	v_cmp_class_f64_e64 s[0:1], v[54:55], s50
	v_mov_b64_e32 v[60:61], v[30:31]
	s_nop 0
	v_cndmask_b32_e64 v57, v51, v55, s[0:1]
	v_cndmask_b32_e64 v56, v50, v54, s[0:1]
	v_add_f64 v[50:51], v[50:51], -v[54:55]
	v_add_f64 v[50:51], v[52:53], -v[50:51]
	v_mul_f64 v[52:53], v[56:57], s[38:39]
	v_rndne_f64_e32 v[52:53], v[52:53]
	v_fma_f64 v[54:55], s[40:41], v[52:53], v[56:57]
	v_fmac_f64_e32 v[54:55], s[42:43], v[52:53]
	v_fma_f64 v[58:59], s[44:45], v[54:55], v[22:23]
	v_fma_f64 v[58:59], v[54:55], v[58:59], v[24:25]
	;; [unrolled: 1-line block ×4, first 2 shown]
	v_fmac_f64_e32 v[60:61], v[54:55], v[58:59]
	v_mov_b64_e32 v[58:59], v[32:33]
	v_fmac_f64_e32 v[58:59], v[54:55], v[60:61]
	v_mov_b64_e32 v[60:61], v[34:35]
	;; [unrolled: 2-line block ×4, first 2 shown]
	v_fmac_f64_e32 v[60:61], v[54:55], v[58:59]
	v_fma_f64 v[58:59], v[54:55], v[60:61], 1.0
	v_cmp_neq_f64_e64 s[0:1], |v[56:57]|, s[36:37]
	v_fma_f64 v[54:55], v[54:55], v[58:59], 1.0
	v_cvt_i32_f64_e32 v49, v[52:53]
	v_cndmask_b32_e64 v51, 0, v51, s[0:1]
	v_cndmask_b32_e64 v50, 0, v50, s[0:1]
	v_ldexp_f64 v[52:53], v[54:55], v49
	v_cmp_nlt_f64_e64 s[0:1], s[46:47], v[56:57]
	v_cmp_ngt_f64_e64 s[4:5], s[48:49], v[56:57]
	s_nop 0
	v_cndmask_b32_e64 v49, v47, v53, s[0:1]
	s_and_b64 s[0:1], s[4:5], s[0:1]
	v_cndmask_b32_e64 v53, 0, v49, s[4:5]
	v_cndmask_b32_e64 v52, 0, v52, s[0:1]
	v_mov_b64_e32 v[54:55], v[52:53]
	v_fmac_f64_e32 v[54:55], v[54:55], v[50:51]
	v_cmp_class_f64_e64 s[0:1], v[52:53], s50
	v_trunc_f64_e32 v[50:51], v[40:41]
	v_cmp_lt_f64_e64 s[4:5], |v[42:43]|, 1.0
	v_cndmask_b32_e64 v49, v54, v52, s[0:1]
	v_cndmask_b32_e64 v52, v55, v53, s[0:1]
	v_cmp_eq_f64_e64 s[0:1], v[50:51], v[40:41]
	s_and_b64 s[2:3], s[0:1], s[2:3]
	v_cndmask_b32_e64 v50, v44, v43, s[2:3]
	v_bfi_b32 v50, s51, v52, v50
	v_cndmask_b32_e64 v51, v48, v50, s[0:1]
	v_cndmask_b32_e64 v52, 0, v49, s[0:1]
	v_cmp_gt_f64_e64 s[0:1], 0, v[42:43]
	s_nop 1
	v_cndmask_b32_e64 v49, v49, v52, s[0:1]
	v_cndmask_b32_e64 v50, v50, v51, s[0:1]
	v_cmp_neq_f64_e64 s[0:1], v[40:41], |v[40:41]|
	s_xor_b64 s[0:1], s[0:1], s[4:5]
	v_cmp_eq_f64_e64 s[4:5], 0, v[42:43]
	v_cndmask_b32_e64 v51, v47, 0, s[0:1]
	v_cmp_neq_f64_e64 s[0:1], |v[42:43]|, 1.0
	s_xor_b64 s[6:7], s[6:7], s[4:5]
	v_cndmask_b32_e64 v52, 0, v43, s[2:3]
	v_cndmask_b32_e64 v51, v44, v51, s[0:1]
	v_cmp_class_f64_e64 s[0:1], v[40:41], s50
	s_or_b64 s[2:3], s[4:5], s[52:53]
	s_nop 0
	v_cndmask_b32_e64 v50, v50, v51, s[0:1]
	v_cndmask_b32_e64 v51, v47, 0, s[6:7]
	v_bfi_b32 v51, s51, v51, v52
	s_or_b64 s[0:1], s[2:3], s[0:1]
	v_cndmask_b32_e64 v50, v50, v51, s[2:3]
	v_cndmask_b32_e64 v49, v49, 0, s[0:1]
	v_cmp_o_f64_e64 s[0:1], v[42:43], v[40:41]
	s_nop 1
	v_cndmask_b32_e64 v40, 0, v49, s[0:1]
	v_cndmask_b32_e64 v41, v48, v50, s[0:1]
	global_store_dwordx2 v[4:5], v[40:41], off
	v_mov_b32_e32 v40, s21
	v_subrev_co_u32_e64 v2, s[0:1], s20, v2
	v_lshl_add_u64 v[4:5], v[4:5], 0, s[14:15]
	s_nop 0
	v_subb_co_u32_e64 v3, s[0:1], v3, v40, s[0:1]
	v_cmp_le_i32_e64 s[0:1], s33, v0
	s_or_b64 s[22:23], s[0:1], s[22:23]
	s_andn2_b64 exec, exec, s[22:23]
	s_cbranch_execz .LBB32_7
.LBB32_3:                               ; =>This Inner Loop Header: Depth=1
	v_cmp_le_i64_e64 s[0:1], s[18:19], v[0:1]
                                        ; implicit-def: $vgpr40_vgpr41
	s_and_saveexec_b64 s[2:3], s[0:1]
	s_xor_b64 s[0:1], exec, s[2:3]
; %bb.4:                                ;   in Loop: Header=BB32_3 Depth=1
	v_cvt_f64_i32_e32 v[40:41], v3
	v_ldexp_f64 v[40:41], v[40:41], 32
	v_cvt_f64_u32_e32 v[42:43], v2
	v_add_f64 v[40:41], v[40:41], v[42:43]
	v_mov_b64_e32 v[42:43], s[10:11]
	v_fma_f64 v[40:41], -s[16:17], v[40:41], v[42:43]
; %bb.5:                                ;   in Loop: Header=BB32_3 Depth=1
	s_andn2_saveexec_b64 s[0:1], s[0:1]
	s_cbranch_execz .LBB32_2
; %bb.6:                                ;   in Loop: Header=BB32_3 Depth=1
	v_cvt_f64_i32_e32 v[40:41], v0
	v_mov_b64_e32 v[42:43], s[8:9]
	v_fma_f64 v[40:41], s[16:17], v[40:41], v[42:43]
	s_branch .LBB32_2
.LBB32_7:
	s_endpgm
	.section	.rodata,"a",@progbits
	.p2align	6, 0x0
	.amdhsa_kernel _ZN12_GLOBAL__N_141elementwise_kernel_with_index_grid_strideIiZZZN2at6native17logspace_cuda_outERKN3c106ScalarES6_ldRNS1_6TensorEENKUlvE0_clEvENKUlvE_clEvEUllE_EEvT_T0_PN15function_traitsISD_E11result_typeE
		.amdhsa_group_segment_fixed_size 0
		.amdhsa_private_segment_fixed_size 0
		.amdhsa_kernarg_size 320
		.amdhsa_user_sgpr_count 2
		.amdhsa_user_sgpr_dispatch_ptr 0
		.amdhsa_user_sgpr_queue_ptr 0
		.amdhsa_user_sgpr_kernarg_segment_ptr 1
		.amdhsa_user_sgpr_dispatch_id 0
		.amdhsa_user_sgpr_kernarg_preload_length 0
		.amdhsa_user_sgpr_kernarg_preload_offset 0
		.amdhsa_user_sgpr_private_segment_size 0
		.amdhsa_uses_dynamic_stack 0
		.amdhsa_enable_private_segment 0
		.amdhsa_system_sgpr_workgroup_id_x 1
		.amdhsa_system_sgpr_workgroup_id_y 0
		.amdhsa_system_sgpr_workgroup_id_z 0
		.amdhsa_system_sgpr_workgroup_info 0
		.amdhsa_system_vgpr_workitem_id 0
		.amdhsa_next_free_vgpr 68
		.amdhsa_next_free_sgpr 54
		.amdhsa_accum_offset 68
		.amdhsa_reserve_vcc 1
		.amdhsa_float_round_mode_32 0
		.amdhsa_float_round_mode_16_64 0
		.amdhsa_float_denorm_mode_32 3
		.amdhsa_float_denorm_mode_16_64 3
		.amdhsa_dx10_clamp 1
		.amdhsa_ieee_mode 1
		.amdhsa_fp16_overflow 0
		.amdhsa_tg_split 0
		.amdhsa_exception_fp_ieee_invalid_op 0
		.amdhsa_exception_fp_denorm_src 0
		.amdhsa_exception_fp_ieee_div_zero 0
		.amdhsa_exception_fp_ieee_overflow 0
		.amdhsa_exception_fp_ieee_underflow 0
		.amdhsa_exception_fp_ieee_inexact 0
		.amdhsa_exception_int_div_zero 0
	.end_amdhsa_kernel
	.section	.text._ZN12_GLOBAL__N_141elementwise_kernel_with_index_grid_strideIiZZZN2at6native17logspace_cuda_outERKN3c106ScalarES6_ldRNS1_6TensorEENKUlvE0_clEvENKUlvE_clEvEUllE_EEvT_T0_PN15function_traitsISD_E11result_typeE,"axG",@progbits,_ZN12_GLOBAL__N_141elementwise_kernel_with_index_grid_strideIiZZZN2at6native17logspace_cuda_outERKN3c106ScalarES6_ldRNS1_6TensorEENKUlvE0_clEvENKUlvE_clEvEUllE_EEvT_T0_PN15function_traitsISD_E11result_typeE,comdat
.Lfunc_end32:
	.size	_ZN12_GLOBAL__N_141elementwise_kernel_with_index_grid_strideIiZZZN2at6native17logspace_cuda_outERKN3c106ScalarES6_ldRNS1_6TensorEENKUlvE0_clEvENKUlvE_clEvEUllE_EEvT_T0_PN15function_traitsISD_E11result_typeE, .Lfunc_end32-_ZN12_GLOBAL__N_141elementwise_kernel_with_index_grid_strideIiZZZN2at6native17logspace_cuda_outERKN3c106ScalarES6_ldRNS1_6TensorEENKUlvE0_clEvENKUlvE_clEvEUllE_EEvT_T0_PN15function_traitsISD_E11result_typeE
                                        ; -- End function
	.set _ZN12_GLOBAL__N_141elementwise_kernel_with_index_grid_strideIiZZZN2at6native17logspace_cuda_outERKN3c106ScalarES6_ldRNS1_6TensorEENKUlvE0_clEvENKUlvE_clEvEUllE_EEvT_T0_PN15function_traitsISD_E11result_typeE.num_vgpr, 68
	.set _ZN12_GLOBAL__N_141elementwise_kernel_with_index_grid_strideIiZZZN2at6native17logspace_cuda_outERKN3c106ScalarES6_ldRNS1_6TensorEENKUlvE0_clEvENKUlvE_clEvEUllE_EEvT_T0_PN15function_traitsISD_E11result_typeE.num_agpr, 0
	.set _ZN12_GLOBAL__N_141elementwise_kernel_with_index_grid_strideIiZZZN2at6native17logspace_cuda_outERKN3c106ScalarES6_ldRNS1_6TensorEENKUlvE0_clEvENKUlvE_clEvEUllE_EEvT_T0_PN15function_traitsISD_E11result_typeE.numbered_sgpr, 54
	.set _ZN12_GLOBAL__N_141elementwise_kernel_with_index_grid_strideIiZZZN2at6native17logspace_cuda_outERKN3c106ScalarES6_ldRNS1_6TensorEENKUlvE0_clEvENKUlvE_clEvEUllE_EEvT_T0_PN15function_traitsISD_E11result_typeE.num_named_barrier, 0
	.set _ZN12_GLOBAL__N_141elementwise_kernel_with_index_grid_strideIiZZZN2at6native17logspace_cuda_outERKN3c106ScalarES6_ldRNS1_6TensorEENKUlvE0_clEvENKUlvE_clEvEUllE_EEvT_T0_PN15function_traitsISD_E11result_typeE.private_seg_size, 0
	.set _ZN12_GLOBAL__N_141elementwise_kernel_with_index_grid_strideIiZZZN2at6native17logspace_cuda_outERKN3c106ScalarES6_ldRNS1_6TensorEENKUlvE0_clEvENKUlvE_clEvEUllE_EEvT_T0_PN15function_traitsISD_E11result_typeE.uses_vcc, 1
	.set _ZN12_GLOBAL__N_141elementwise_kernel_with_index_grid_strideIiZZZN2at6native17logspace_cuda_outERKN3c106ScalarES6_ldRNS1_6TensorEENKUlvE0_clEvENKUlvE_clEvEUllE_EEvT_T0_PN15function_traitsISD_E11result_typeE.uses_flat_scratch, 0
	.set _ZN12_GLOBAL__N_141elementwise_kernel_with_index_grid_strideIiZZZN2at6native17logspace_cuda_outERKN3c106ScalarES6_ldRNS1_6TensorEENKUlvE0_clEvENKUlvE_clEvEUllE_EEvT_T0_PN15function_traitsISD_E11result_typeE.has_dyn_sized_stack, 0
	.set _ZN12_GLOBAL__N_141elementwise_kernel_with_index_grid_strideIiZZZN2at6native17logspace_cuda_outERKN3c106ScalarES6_ldRNS1_6TensorEENKUlvE0_clEvENKUlvE_clEvEUllE_EEvT_T0_PN15function_traitsISD_E11result_typeE.has_recursion, 0
	.set _ZN12_GLOBAL__N_141elementwise_kernel_with_index_grid_strideIiZZZN2at6native17logspace_cuda_outERKN3c106ScalarES6_ldRNS1_6TensorEENKUlvE0_clEvENKUlvE_clEvEUllE_EEvT_T0_PN15function_traitsISD_E11result_typeE.has_indirect_call, 0
	.section	.AMDGPU.csdata,"",@progbits
; Kernel info:
; codeLenInByte = 2236
; TotalNumSgprs: 60
; NumVgprs: 68
; NumAgprs: 0
; TotalNumVgprs: 68
; ScratchSize: 0
; MemoryBound: 0
; FloatMode: 240
; IeeeMode: 1
; LDSByteSize: 0 bytes/workgroup (compile time only)
; SGPRBlocks: 7
; VGPRBlocks: 8
; NumSGPRsForWavesPerEU: 60
; NumVGPRsForWavesPerEU: 68
; AccumOffset: 68
; Occupancy: 7
; WaveLimiterHint : 0
; COMPUTE_PGM_RSRC2:SCRATCH_EN: 0
; COMPUTE_PGM_RSRC2:USER_SGPR: 2
; COMPUTE_PGM_RSRC2:TRAP_HANDLER: 0
; COMPUTE_PGM_RSRC2:TGID_X_EN: 1
; COMPUTE_PGM_RSRC2:TGID_Y_EN: 0
; COMPUTE_PGM_RSRC2:TGID_Z_EN: 0
; COMPUTE_PGM_RSRC2:TIDIG_COMP_CNT: 0
; COMPUTE_PGM_RSRC3_GFX90A:ACCUM_OFFSET: 16
; COMPUTE_PGM_RSRC3_GFX90A:TG_SPLIT: 0
	.section	.text._ZN12_GLOBAL__N_141elementwise_kernel_with_index_grid_strideIlZZZN2at6native17logspace_cuda_outERKN3c106ScalarES6_ldRNS1_6TensorEENKUlvE0_clEvENKUlvE_clEvEUllE_EEvT_T0_PN15function_traitsISD_E11result_typeE,"axG",@progbits,_ZN12_GLOBAL__N_141elementwise_kernel_with_index_grid_strideIlZZZN2at6native17logspace_cuda_outERKN3c106ScalarES6_ldRNS1_6TensorEENKUlvE0_clEvENKUlvE_clEvEUllE_EEvT_T0_PN15function_traitsISD_E11result_typeE,comdat
	.globl	_ZN12_GLOBAL__N_141elementwise_kernel_with_index_grid_strideIlZZZN2at6native17logspace_cuda_outERKN3c106ScalarES6_ldRNS1_6TensorEENKUlvE0_clEvENKUlvE_clEvEUllE_EEvT_T0_PN15function_traitsISD_E11result_typeE ; -- Begin function _ZN12_GLOBAL__N_141elementwise_kernel_with_index_grid_strideIlZZZN2at6native17logspace_cuda_outERKN3c106ScalarES6_ldRNS1_6TensorEENKUlvE0_clEvENKUlvE_clEvEUllE_EEvT_T0_PN15function_traitsISD_E11result_typeE
	.p2align	8
	.type	_ZN12_GLOBAL__N_141elementwise_kernel_with_index_grid_strideIlZZZN2at6native17logspace_cuda_outERKN3c106ScalarES6_ldRNS1_6TensorEENKUlvE0_clEvENKUlvE_clEvEUllE_EEvT_T0_PN15function_traitsISD_E11result_typeE,@function
_ZN12_GLOBAL__N_141elementwise_kernel_with_index_grid_strideIlZZZN2at6native17logspace_cuda_outERKN3c106ScalarES6_ldRNS1_6TensorEENKUlvE0_clEvENKUlvE_clEvEUllE_EEvT_T0_PN15function_traitsISD_E11result_typeE: ; @_ZN12_GLOBAL__N_141elementwise_kernel_with_index_grid_strideIlZZZN2at6native17logspace_cuda_outERKN3c106ScalarES6_ldRNS1_6TensorEENKUlvE0_clEvENKUlvE_clEvEUllE_EEvT_T0_PN15function_traitsISD_E11result_typeE
; %bb.0:
	s_load_dword s3, s[0:1], 0x4c
	s_load_dwordx16 s[8:23], s[0:1], 0x0
	s_add_u32 s0, s0, 64
	s_addc_u32 s1, s1, 0
	v_mov_b32_e32 v1, 0
	s_waitcnt lgkmcnt(0)
	s_and_b32 s3, s3, 0xffff
	v_mov_b32_e32 v2, s2
	v_mad_u64_u32 v[0:1], s[4:5], s3, v2, v[0:1]
	v_cmp_gt_i64_e32 vcc, s[8:9], v[0:1]
	s_and_saveexec_b64 s[4:5], vcc
	s_cbranch_execz .LBB33_7
; %bb.1:
	s_load_dword s0, s[0:1], 0x0
	v_mov_b32_e32 v4, s22
	v_mov_b32_e32 v5, s23
	v_cmp_eq_f64_e64 vcc, s[14:15], 1.0
	v_not_b32_e32 v3, v1
	s_waitcnt lgkmcnt(0)
	s_mul_hi_u32 s23, s3, s0
	s_mul_i32 s22, s3, s0
	v_not_b32_e32 v2, v0
	v_mov_b32_e32 v45, s15
	v_mov_b32_e32 v46, s14
	s_mov_b32 s14, 0x55555555
	s_mov_b32 s26, 0x55555555
	;; [unrolled: 1-line block ×11, first 2 shown]
	v_lshl_add_u64 v[2:3], v[2:3], 0, s[16:17]
	v_lshl_add_u64 v[4:5], v[0:1], 3, v[4:5]
	s_lshl_b64 s[16:17], s[22:23], 3
	s_mov_b64 s[24:25], 0
	v_mov_b32_e32 v44, 0x3ff00000
	s_mov_b32 s15, 0x3fe55555
	s_mov_b32 s27, 0xbfe55555
	v_mov_b32_e32 v6, 0x968915a9
	v_mov_b32_e32 v7, 0x3fba6564
	s_mov_b32 s29, 0x3fbdee67
	v_mov_b32_e32 v8, 0x3abe935a
	v_mov_b32_e32 v9, 0x3fbe25e4
	;; [unrolled: 1-line block ×14, first 2 shown]
	s_mov_b32 s31, 0x3fe62e42
	s_mov_b32 s35, 0xbfe62e42
	;; [unrolled: 1-line block ×5, first 2 shown]
	s_movk_i32 s33, 0x204
	s_mov_b32 s43, 0x7ff00000
	s_mov_b32 s45, 0x3ff71547
	v_mov_b32_e32 v22, 0xfca7ab0c
	v_mov_b32_e32 v23, 0x3e928af3
	s_mov_b32 s47, 0x3e5ade15
	v_mov_b32_e32 v24, 0x623fde64
	v_mov_b32_e32 v25, 0x3ec71dee
	;; [unrolled: 1-line block ×6, first 2 shown]
	s_mov_b32 s49, 0x40900000
	s_mov_b32 s51, 0xc090cc00
	s_brev_b32 s52, -2
	s_mov_b32 s30, s34
	s_mov_b32 s36, s38
	v_mov_b32_e32 v30, 0x1852b7b0
	v_mov_b32_e32 v31, 0x3f56c16c
	;; [unrolled: 1-line block ×12, first 2 shown]
	s_branch .LBB33_3
.LBB33_2:                               ;   in Loop: Header=BB33_3 Depth=1
	s_or_b64 exec, exec, s[0:1]
	v_cndmask_b32_e32 v41, v41, v44, vcc
	v_cndmask_b32_e64 v40, v40, 0, vcc
	v_cmp_neq_f64_e64 s[0:1], 0, v[40:41]
	v_cmp_gt_f64_e64 s[6:7], 0, v[40:41]
	v_lshl_add_u64 v[0:1], v[0:1], 0, s[22:23]
	v_cndmask_b32_e64 v43, v44, v45, s[0:1]
	v_cndmask_b32_e64 v42, 0, v46, s[0:1]
	v_frexp_mant_f64_e64 v[50:51], |v[42:43]|
	v_cmp_gt_f64_e64 s[0:1], s[14:15], v[50:51]
	v_cmp_class_f64_e64 s[54:55], v[42:43], s33
	s_nop 0
	v_cndmask_b32_e64 v49, 0, 1, s[0:1]
	v_ldexp_f64 v[50:51], v[50:51], v49
	v_add_f64 v[52:53], v[50:51], 1.0
	v_rcp_f64_e32 v[54:55], v[52:53]
	v_frexp_exp_i32_f64_e32 v49, v[42:43]
	v_subbrev_co_u32_e64 v49, s[0:1], 0, v49, s[0:1]
	v_fma_f64 v[56:57], -v[52:53], v[54:55], 1.0
	v_fmac_f64_e32 v[54:55], v[56:57], v[54:55]
	v_fma_f64 v[56:57], -v[52:53], v[54:55], 1.0
	v_fmac_f64_e32 v[54:55], v[56:57], v[54:55]
	v_add_f64 v[56:57], v[52:53], -1.0
	v_add_f64 v[56:57], v[50:51], -v[56:57]
	v_add_f64 v[50:51], v[50:51], -1.0
	v_mul_f64 v[58:59], v[50:51], v[54:55]
	v_mul_f64 v[60:61], v[52:53], v[58:59]
	v_fma_f64 v[52:53], v[58:59], v[52:53], -v[60:61]
	v_fmac_f64_e32 v[52:53], v[58:59], v[56:57]
	v_add_f64 v[56:57], v[60:61], v[52:53]
	v_add_f64 v[62:63], v[50:51], -v[56:57]
	v_add_f64 v[60:61], v[56:57], -v[60:61]
	;; [unrolled: 1-line block ×5, first 2 shown]
	v_add_f64 v[50:51], v[52:53], v[50:51]
	v_add_f64 v[50:51], v[62:63], v[50:51]
	v_mul_f64 v[50:51], v[54:55], v[50:51]
	v_add_f64 v[52:53], v[58:59], v[50:51]
	v_add_f64 v[54:55], v[52:53], -v[58:59]
	v_add_f64 v[50:51], v[50:51], -v[54:55]
	v_mul_f64 v[54:55], v[52:53], v[52:53]
	v_fma_f64 v[56:57], v[52:53], v[52:53], -v[54:55]
	v_add_f64 v[58:59], v[50:51], v[50:51]
	v_fmac_f64_e32 v[56:57], v[52:53], v[58:59]
	v_add_f64 v[58:59], v[54:55], v[56:57]
	v_add_f64 v[54:55], v[58:59], -v[54:55]
	v_add_f64 v[54:55], v[56:57], -v[54:55]
	v_fma_f64 v[56:57], s[28:29], v[58:59], v[6:7]
	v_fma_f64 v[56:57], v[58:59], v[56:57], v[8:9]
	;; [unrolled: 1-line block ×8, first 2 shown]
	v_mul_f64 v[60:61], v[52:53], v[58:59]
	v_fma_f64 v[62:63], v[58:59], v[52:53], -v[60:61]
	v_mul_f64 v[64:65], v[58:59], v[56:57]
	v_fmac_f64_e32 v[62:63], v[58:59], v[50:51]
	v_fma_f64 v[58:59], v[58:59], v[56:57], -v[64:65]
	v_fmac_f64_e32 v[58:59], v[54:55], v[56:57]
	v_fmac_f64_e32 v[62:63], v[54:55], v[52:53]
	v_add_f64 v[54:55], v[64:65], v[58:59]
	v_add_f64 v[56:57], v[54:55], -v[64:65]
	v_add_f64 v[56:57], v[58:59], -v[56:57]
	v_add_f64 v[58:59], v[54:55], s[14:15]
	v_add_f64 v[64:65], v[58:59], s[26:27]
	v_add_f64 v[54:55], v[54:55], -v[64:65]
	v_add_f64 v[56:57], v[56:57], s[40:41]
	v_add_f64 v[54:55], v[56:57], v[54:55]
	;; [unrolled: 1-line block ×3, first 2 shown]
	v_add_f64 v[58:59], v[58:59], -v[56:57]
	v_add_f64 v[54:55], v[54:55], v[58:59]
	v_add_f64 v[58:59], v[60:61], v[62:63]
	v_mul_f64 v[64:65], v[58:59], v[56:57]
	v_fma_f64 v[66:67], v[58:59], v[56:57], -v[64:65]
	v_fmac_f64_e32 v[66:67], v[58:59], v[54:55]
	v_add_f64 v[54:55], v[58:59], -v[60:61]
	v_add_f64 v[54:55], v[62:63], -v[54:55]
	v_fmac_f64_e32 v[66:67], v[54:55], v[56:57]
	v_mul_f64 v[54:55], v[40:41], 0.5
	v_trunc_f64_e32 v[56:57], v[54:55]
	v_cmp_neq_f64_e64 s[2:3], v[56:57], v[54:55]
	v_cvt_f64_i32_e32 v[54:55], v49
	v_mul_f64 v[56:57], v[54:55], s[30:31]
	v_fma_f64 v[58:59], v[54:55], s[30:31], -v[56:57]
	v_fmac_f64_e32 v[58:59], s[36:37], v[54:55]
	v_add_f64 v[54:55], v[56:57], v[58:59]
	v_add_f64 v[56:57], v[54:55], -v[56:57]
	v_add_f64 v[56:57], v[58:59], -v[56:57]
	v_add_f64 v[58:59], v[64:65], v[66:67]
	v_ldexp_f64 v[52:53], v[52:53], 1
	v_add_f64 v[60:61], v[58:59], -v[64:65]
	v_add_f64 v[62:63], v[52:53], v[58:59]
	v_add_f64 v[60:61], v[66:67], -v[60:61]
	v_add_f64 v[52:53], v[62:63], -v[52:53]
	v_ldexp_f64 v[50:51], v[50:51], 1
	v_add_f64 v[52:53], v[58:59], -v[52:53]
	v_add_f64 v[50:51], v[50:51], v[60:61]
	v_add_f64 v[50:51], v[50:51], v[52:53]
	;; [unrolled: 1-line block ×3, first 2 shown]
	v_add_f64 v[58:59], v[52:53], -v[62:63]
	v_add_f64 v[50:51], v[50:51], -v[58:59]
	v_add_f64 v[58:59], v[54:55], v[52:53]
	v_add_f64 v[60:61], v[58:59], -v[54:55]
	v_add_f64 v[62:63], v[58:59], -v[60:61]
	;; [unrolled: 1-line block ×4, first 2 shown]
	v_add_f64 v[52:53], v[52:53], v[54:55]
	v_add_f64 v[54:55], v[56:57], v[50:51]
	v_add_f64 v[60:61], v[54:55], -v[56:57]
	v_add_f64 v[62:63], v[54:55], -v[60:61]
	v_add_f64 v[52:53], v[54:55], v[52:53]
	v_add_f64 v[56:57], v[56:57], -v[62:63]
	v_add_f64 v[50:51], v[50:51], -v[60:61]
	v_add_f64 v[54:55], v[58:59], v[52:53]
	v_add_f64 v[50:51], v[50:51], v[56:57]
	v_add_f64 v[56:57], v[54:55], -v[58:59]
	v_add_f64 v[52:53], v[52:53], -v[56:57]
	v_add_f64 v[50:51], v[50:51], v[52:53]
	v_add_f64 v[52:53], v[54:55], v[50:51]
	v_add_f64 v[54:55], v[52:53], -v[54:55]
	v_add_f64 v[50:51], v[50:51], -v[54:55]
	v_mul_f64 v[54:55], v[40:41], v[52:53]
	v_fma_f64 v[52:53], v[40:41], v[52:53], -v[54:55]
	v_fmac_f64_e32 v[52:53], v[40:41], v[50:51]
	v_add_f64 v[50:51], v[54:55], v[52:53]
	v_cmp_class_f64_e64 s[0:1], v[54:55], s33
	v_mov_b64_e32 v[60:61], v[32:33]
	s_nop 0
	v_cndmask_b32_e64 v57, v51, v55, s[0:1]
	v_cndmask_b32_e64 v56, v50, v54, s[0:1]
	v_add_f64 v[50:51], v[50:51], -v[54:55]
	v_add_f64 v[50:51], v[52:53], -v[50:51]
	v_mul_f64 v[52:53], v[56:57], s[44:45]
	v_rndne_f64_e32 v[52:53], v[52:53]
	v_fma_f64 v[54:55], s[34:35], v[52:53], v[56:57]
	v_fmac_f64_e32 v[54:55], s[38:39], v[52:53]
	v_fma_f64 v[58:59], s[46:47], v[54:55], v[22:23]
	v_fma_f64 v[58:59], v[54:55], v[58:59], v[24:25]
	;; [unrolled: 1-line block ×5, first 2 shown]
	v_fmac_f64_e32 v[60:61], v[54:55], v[58:59]
	v_mov_b64_e32 v[58:59], v[34:35]
	v_fmac_f64_e32 v[58:59], v[54:55], v[60:61]
	v_mov_b64_e32 v[60:61], v[36:37]
	;; [unrolled: 2-line block ×3, first 2 shown]
	v_fmac_f64_e32 v[58:59], v[54:55], v[60:61]
	v_fma_f64 v[58:59], v[54:55], v[58:59], 1.0
	v_cmp_neq_f64_e64 s[0:1], |v[56:57]|, s[42:43]
	v_fma_f64 v[54:55], v[54:55], v[58:59], 1.0
	v_cvt_i32_f64_e32 v49, v[52:53]
	v_cndmask_b32_e64 v51, 0, v51, s[0:1]
	v_cndmask_b32_e64 v50, 0, v50, s[0:1]
	v_ldexp_f64 v[52:53], v[54:55], v49
	v_cmp_nlt_f64_e64 s[0:1], s[48:49], v[56:57]
	v_cmp_ngt_f64_e64 s[4:5], s[50:51], v[56:57]
	s_nop 0
	v_cndmask_b32_e64 v49, v47, v53, s[0:1]
	s_and_b64 s[0:1], s[4:5], s[0:1]
	v_cndmask_b32_e64 v53, 0, v49, s[4:5]
	v_cndmask_b32_e64 v52, 0, v52, s[0:1]
	v_mov_b64_e32 v[54:55], v[52:53]
	v_fmac_f64_e32 v[54:55], v[54:55], v[50:51]
	v_cmp_class_f64_e64 s[0:1], v[52:53], s33
	v_trunc_f64_e32 v[50:51], v[40:41]
	v_cmp_lt_f64_e64 s[4:5], |v[42:43]|, 1.0
	v_cndmask_b32_e64 v49, v54, v52, s[0:1]
	v_cndmask_b32_e64 v52, v55, v53, s[0:1]
	v_cmp_eq_f64_e64 s[0:1], v[50:51], v[40:41]
	s_and_b64 s[2:3], s[0:1], s[2:3]
	v_cndmask_b32_e64 v50, v44, v43, s[2:3]
	v_bfi_b32 v50, s52, v52, v50
	v_cndmask_b32_e64 v51, v48, v50, s[0:1]
	v_cndmask_b32_e64 v52, 0, v49, s[0:1]
	v_cmp_gt_f64_e64 s[0:1], 0, v[42:43]
	s_nop 1
	v_cndmask_b32_e64 v49, v49, v52, s[0:1]
	v_cndmask_b32_e64 v50, v50, v51, s[0:1]
	v_cmp_neq_f64_e64 s[0:1], v[40:41], |v[40:41]|
	s_xor_b64 s[0:1], s[0:1], s[4:5]
	v_cmp_eq_f64_e64 s[4:5], 0, v[42:43]
	v_cndmask_b32_e64 v51, v47, 0, s[0:1]
	v_cmp_neq_f64_e64 s[0:1], |v[42:43]|, 1.0
	s_xor_b64 s[6:7], s[6:7], s[4:5]
	v_cndmask_b32_e64 v52, 0, v43, s[2:3]
	v_cndmask_b32_e64 v51, v44, v51, s[0:1]
	v_cmp_class_f64_e64 s[0:1], v[40:41], s33
	s_or_b64 s[2:3], s[4:5], s[54:55]
	s_nop 0
	v_cndmask_b32_e64 v50, v50, v51, s[0:1]
	v_cndmask_b32_e64 v51, v47, 0, s[6:7]
	v_bfi_b32 v51, s52, v51, v52
	s_or_b64 s[0:1], s[2:3], s[0:1]
	v_cndmask_b32_e64 v50, v50, v51, s[2:3]
	v_cndmask_b32_e64 v49, v49, 0, s[0:1]
	v_cmp_o_f64_e64 s[0:1], v[42:43], v[40:41]
	s_nop 1
	v_cndmask_b32_e64 v40, 0, v49, s[0:1]
	v_cndmask_b32_e64 v41, v48, v50, s[0:1]
	global_store_dwordx2 v[4:5], v[40:41], off
	v_mov_b32_e32 v40, s23
	v_subrev_co_u32_e64 v2, s[0:1], s22, v2
	v_lshl_add_u64 v[4:5], v[4:5], 0, s[16:17]
	s_nop 0
	v_subb_co_u32_e64 v3, s[0:1], v3, v40, s[0:1]
	v_cmp_le_i64_e64 s[0:1], s[8:9], v[0:1]
	s_or_b64 s[24:25], s[0:1], s[24:25]
	s_andn2_b64 exec, exec, s[24:25]
	s_cbranch_execz .LBB33_7
.LBB33_3:                               ; =>This Inner Loop Header: Depth=1
	v_cmp_le_i64_e64 s[0:1], s[20:21], v[0:1]
                                        ; implicit-def: $vgpr40_vgpr41
	s_and_saveexec_b64 s[2:3], s[0:1]
	s_xor_b64 s[0:1], exec, s[2:3]
; %bb.4:                                ;   in Loop: Header=BB33_3 Depth=1
	v_cvt_f64_i32_e32 v[40:41], v3
	v_ldexp_f64 v[40:41], v[40:41], 32
	v_cvt_f64_u32_e32 v[42:43], v2
	v_add_f64 v[40:41], v[40:41], v[42:43]
	v_mov_b64_e32 v[42:43], s[12:13]
	v_fma_f64 v[40:41], -s[18:19], v[40:41], v[42:43]
; %bb.5:                                ;   in Loop: Header=BB33_3 Depth=1
	s_andn2_saveexec_b64 s[0:1], s[0:1]
	s_cbranch_execz .LBB33_2
; %bb.6:                                ;   in Loop: Header=BB33_3 Depth=1
	v_cvt_f64_u32_e32 v[40:41], v1
	v_ldexp_f64 v[40:41], v[40:41], 32
	v_cvt_f64_u32_e32 v[42:43], v0
	v_add_f64 v[40:41], v[40:41], v[42:43]
	v_mov_b64_e32 v[42:43], s[10:11]
	v_fma_f64 v[40:41], s[18:19], v[40:41], v[42:43]
	s_branch .LBB33_2
.LBB33_7:
	s_endpgm
	.section	.rodata,"a",@progbits
	.p2align	6, 0x0
	.amdhsa_kernel _ZN12_GLOBAL__N_141elementwise_kernel_with_index_grid_strideIlZZZN2at6native17logspace_cuda_outERKN3c106ScalarES6_ldRNS1_6TensorEENKUlvE0_clEvENKUlvE_clEvEUllE_EEvT_T0_PN15function_traitsISD_E11result_typeE
		.amdhsa_group_segment_fixed_size 0
		.amdhsa_private_segment_fixed_size 0
		.amdhsa_kernarg_size 320
		.amdhsa_user_sgpr_count 2
		.amdhsa_user_sgpr_dispatch_ptr 0
		.amdhsa_user_sgpr_queue_ptr 0
		.amdhsa_user_sgpr_kernarg_segment_ptr 1
		.amdhsa_user_sgpr_dispatch_id 0
		.amdhsa_user_sgpr_kernarg_preload_length 0
		.amdhsa_user_sgpr_kernarg_preload_offset 0
		.amdhsa_user_sgpr_private_segment_size 0
		.amdhsa_uses_dynamic_stack 0
		.amdhsa_enable_private_segment 0
		.amdhsa_system_sgpr_workgroup_id_x 1
		.amdhsa_system_sgpr_workgroup_id_y 0
		.amdhsa_system_sgpr_workgroup_id_z 0
		.amdhsa_system_sgpr_workgroup_info 0
		.amdhsa_system_vgpr_workitem_id 0
		.amdhsa_next_free_vgpr 68
		.amdhsa_next_free_sgpr 56
		.amdhsa_accum_offset 68
		.amdhsa_reserve_vcc 1
		.amdhsa_float_round_mode_32 0
		.amdhsa_float_round_mode_16_64 0
		.amdhsa_float_denorm_mode_32 3
		.amdhsa_float_denorm_mode_16_64 3
		.amdhsa_dx10_clamp 1
		.amdhsa_ieee_mode 1
		.amdhsa_fp16_overflow 0
		.amdhsa_tg_split 0
		.amdhsa_exception_fp_ieee_invalid_op 0
		.amdhsa_exception_fp_denorm_src 0
		.amdhsa_exception_fp_ieee_div_zero 0
		.amdhsa_exception_fp_ieee_overflow 0
		.amdhsa_exception_fp_ieee_underflow 0
		.amdhsa_exception_fp_ieee_inexact 0
		.amdhsa_exception_int_div_zero 0
	.end_amdhsa_kernel
	.section	.text._ZN12_GLOBAL__N_141elementwise_kernel_with_index_grid_strideIlZZZN2at6native17logspace_cuda_outERKN3c106ScalarES6_ldRNS1_6TensorEENKUlvE0_clEvENKUlvE_clEvEUllE_EEvT_T0_PN15function_traitsISD_E11result_typeE,"axG",@progbits,_ZN12_GLOBAL__N_141elementwise_kernel_with_index_grid_strideIlZZZN2at6native17logspace_cuda_outERKN3c106ScalarES6_ldRNS1_6TensorEENKUlvE0_clEvENKUlvE_clEvEUllE_EEvT_T0_PN15function_traitsISD_E11result_typeE,comdat
.Lfunc_end33:
	.size	_ZN12_GLOBAL__N_141elementwise_kernel_with_index_grid_strideIlZZZN2at6native17logspace_cuda_outERKN3c106ScalarES6_ldRNS1_6TensorEENKUlvE0_clEvENKUlvE_clEvEUllE_EEvT_T0_PN15function_traitsISD_E11result_typeE, .Lfunc_end33-_ZN12_GLOBAL__N_141elementwise_kernel_with_index_grid_strideIlZZZN2at6native17logspace_cuda_outERKN3c106ScalarES6_ldRNS1_6TensorEENKUlvE0_clEvENKUlvE_clEvEUllE_EEvT_T0_PN15function_traitsISD_E11result_typeE
                                        ; -- End function
	.set _ZN12_GLOBAL__N_141elementwise_kernel_with_index_grid_strideIlZZZN2at6native17logspace_cuda_outERKN3c106ScalarES6_ldRNS1_6TensorEENKUlvE0_clEvENKUlvE_clEvEUllE_EEvT_T0_PN15function_traitsISD_E11result_typeE.num_vgpr, 68
	.set _ZN12_GLOBAL__N_141elementwise_kernel_with_index_grid_strideIlZZZN2at6native17logspace_cuda_outERKN3c106ScalarES6_ldRNS1_6TensorEENKUlvE0_clEvENKUlvE_clEvEUllE_EEvT_T0_PN15function_traitsISD_E11result_typeE.num_agpr, 0
	.set _ZN12_GLOBAL__N_141elementwise_kernel_with_index_grid_strideIlZZZN2at6native17logspace_cuda_outERKN3c106ScalarES6_ldRNS1_6TensorEENKUlvE0_clEvENKUlvE_clEvEUllE_EEvT_T0_PN15function_traitsISD_E11result_typeE.numbered_sgpr, 56
	.set _ZN12_GLOBAL__N_141elementwise_kernel_with_index_grid_strideIlZZZN2at6native17logspace_cuda_outERKN3c106ScalarES6_ldRNS1_6TensorEENKUlvE0_clEvENKUlvE_clEvEUllE_EEvT_T0_PN15function_traitsISD_E11result_typeE.num_named_barrier, 0
	.set _ZN12_GLOBAL__N_141elementwise_kernel_with_index_grid_strideIlZZZN2at6native17logspace_cuda_outERKN3c106ScalarES6_ldRNS1_6TensorEENKUlvE0_clEvENKUlvE_clEvEUllE_EEvT_T0_PN15function_traitsISD_E11result_typeE.private_seg_size, 0
	.set _ZN12_GLOBAL__N_141elementwise_kernel_with_index_grid_strideIlZZZN2at6native17logspace_cuda_outERKN3c106ScalarES6_ldRNS1_6TensorEENKUlvE0_clEvENKUlvE_clEvEUllE_EEvT_T0_PN15function_traitsISD_E11result_typeE.uses_vcc, 1
	.set _ZN12_GLOBAL__N_141elementwise_kernel_with_index_grid_strideIlZZZN2at6native17logspace_cuda_outERKN3c106ScalarES6_ldRNS1_6TensorEENKUlvE0_clEvENKUlvE_clEvEUllE_EEvT_T0_PN15function_traitsISD_E11result_typeE.uses_flat_scratch, 0
	.set _ZN12_GLOBAL__N_141elementwise_kernel_with_index_grid_strideIlZZZN2at6native17logspace_cuda_outERKN3c106ScalarES6_ldRNS1_6TensorEENKUlvE0_clEvENKUlvE_clEvEUllE_EEvT_T0_PN15function_traitsISD_E11result_typeE.has_dyn_sized_stack, 0
	.set _ZN12_GLOBAL__N_141elementwise_kernel_with_index_grid_strideIlZZZN2at6native17logspace_cuda_outERKN3c106ScalarES6_ldRNS1_6TensorEENKUlvE0_clEvENKUlvE_clEvEUllE_EEvT_T0_PN15function_traitsISD_E11result_typeE.has_recursion, 0
	.set _ZN12_GLOBAL__N_141elementwise_kernel_with_index_grid_strideIlZZZN2at6native17logspace_cuda_outERKN3c106ScalarES6_ldRNS1_6TensorEENKUlvE0_clEvENKUlvE_clEvEUllE_EEvT_T0_PN15function_traitsISD_E11result_typeE.has_indirect_call, 0
	.section	.AMDGPU.csdata,"",@progbits
; Kernel info:
; codeLenInByte = 2248
; TotalNumSgprs: 62
; NumVgprs: 68
; NumAgprs: 0
; TotalNumVgprs: 68
; ScratchSize: 0
; MemoryBound: 0
; FloatMode: 240
; IeeeMode: 1
; LDSByteSize: 0 bytes/workgroup (compile time only)
; SGPRBlocks: 7
; VGPRBlocks: 8
; NumSGPRsForWavesPerEU: 62
; NumVGPRsForWavesPerEU: 68
; AccumOffset: 68
; Occupancy: 7
; WaveLimiterHint : 0
; COMPUTE_PGM_RSRC2:SCRATCH_EN: 0
; COMPUTE_PGM_RSRC2:USER_SGPR: 2
; COMPUTE_PGM_RSRC2:TRAP_HANDLER: 0
; COMPUTE_PGM_RSRC2:TGID_X_EN: 1
; COMPUTE_PGM_RSRC2:TGID_Y_EN: 0
; COMPUTE_PGM_RSRC2:TGID_Z_EN: 0
; COMPUTE_PGM_RSRC2:TIDIG_COMP_CNT: 0
; COMPUTE_PGM_RSRC3_GFX90A:ACCUM_OFFSET: 16
; COMPUTE_PGM_RSRC3_GFX90A:TG_SPLIT: 0
	.section	.text._ZN12_GLOBAL__N_141elementwise_kernel_with_index_grid_strideIiZZZN2at6native17logspace_cuda_outERKN3c106ScalarES6_ldRNS1_6TensorEENKUlvE0_clEvENKUlvE0_clEvEUllE_EEvT_T0_PN15function_traitsISD_E11result_typeE,"axG",@progbits,_ZN12_GLOBAL__N_141elementwise_kernel_with_index_grid_strideIiZZZN2at6native17logspace_cuda_outERKN3c106ScalarES6_ldRNS1_6TensorEENKUlvE0_clEvENKUlvE0_clEvEUllE_EEvT_T0_PN15function_traitsISD_E11result_typeE,comdat
	.globl	_ZN12_GLOBAL__N_141elementwise_kernel_with_index_grid_strideIiZZZN2at6native17logspace_cuda_outERKN3c106ScalarES6_ldRNS1_6TensorEENKUlvE0_clEvENKUlvE0_clEvEUllE_EEvT_T0_PN15function_traitsISD_E11result_typeE ; -- Begin function _ZN12_GLOBAL__N_141elementwise_kernel_with_index_grid_strideIiZZZN2at6native17logspace_cuda_outERKN3c106ScalarES6_ldRNS1_6TensorEENKUlvE0_clEvENKUlvE0_clEvEUllE_EEvT_T0_PN15function_traitsISD_E11result_typeE
	.p2align	8
	.type	_ZN12_GLOBAL__N_141elementwise_kernel_with_index_grid_strideIiZZZN2at6native17logspace_cuda_outERKN3c106ScalarES6_ldRNS1_6TensorEENKUlvE0_clEvENKUlvE0_clEvEUllE_EEvT_T0_PN15function_traitsISD_E11result_typeE,@function
_ZN12_GLOBAL__N_141elementwise_kernel_with_index_grid_strideIiZZZN2at6native17logspace_cuda_outERKN3c106ScalarES6_ldRNS1_6TensorEENKUlvE0_clEvENKUlvE0_clEvEUllE_EEvT_T0_PN15function_traitsISD_E11result_typeE: ; @_ZN12_GLOBAL__N_141elementwise_kernel_with_index_grid_strideIiZZZN2at6native17logspace_cuda_outERKN3c106ScalarES6_ldRNS1_6TensorEENKUlvE0_clEvENKUlvE0_clEvEUllE_EEvT_T0_PN15function_traitsISD_E11result_typeE
; %bb.0:
	s_load_dword s3, s[0:1], 0x44
	s_load_dword s18, s[0:1], 0x0
	s_add_u32 s12, s0, 56
	s_addc_u32 s13, s1, 0
	s_waitcnt lgkmcnt(0)
	s_and_b32 s3, s3, 0xffff
	s_mul_i32 s2, s2, s3
	v_add_u32_e32 v0, s2, v0
	v_cmp_gt_i32_e32 vcc, s18, v0
	s_and_saveexec_b64 s[4:5], vcc
	s_cbranch_execz .LBB34_7
; %bb.1:
	s_load_dwordx4 s[4:7], s[0:1], 0x28
	s_load_dword s19, s[0:1], 0x20
	s_load_dword s2, s[12:13], 0x0
	s_load_dwordx4 s[8:11], s[0:1], 0x8
	s_load_dwordx2 s[14:15], s[0:1], 0x18
	s_waitcnt lgkmcnt(0)
	v_mov_b32_e32 v4, s6
	v_ashrrev_i32_e32 v1, 31, v0
	s_mul_i32 s6, s2, s3
	v_mov_b32_e32 v5, s7
	v_not_b32_e32 v3, v1
	v_not_b32_e32 v2, v0
	s_ashr_i32 s7, s6, 31
                                        ; implicit-def: $vgpr8
	v_cmp_eq_f32_e64 s[12:13], s10, 1.0
	v_lshl_add_u64 v[2:3], v[2:3], 0, s[14:15]
	v_lshl_add_u64 v[4:5], v[0:1], 2, v[4:5]
	s_lshl_b64 s[14:15], s[6:7], 2
	s_mov_b64 s[16:17], 0
	v_mov_b32_e32 v6, s10
	s_mov_b32 s10, 0x3f2aaaab
	v_mov_b32_e32 v7, 0x3e91f4c4
	s_mov_b32 s11, 0x3f317218
	s_movk_i32 s20, 0x204
	s_mov_b32 s21, 0x7f800000
	s_mov_b32 s22, 0x42b17218
	v_mov_b32_e32 v8, 0x37000000
	s_mov_b32 s23, 0x3fb8aa3b
	s_mov_b32 s24, 0xc2ce8ed0
	v_mov_b32_e32 v9, 0x7f800000
	s_brev_b32 s25, -2
	v_mov_b32_e32 v10, 0x7fc00000
	v_mov_b32_e32 v11, s7
	s_branch .LBB34_3
.LBB34_2:                               ;   in Loop: Header=BB34_3 Depth=1
	s_or_b64 exec, exec, s[0:1]
	v_cndmask_b32_e64 v26, v12, 1.0, s[12:13]
	v_cmp_neq_f32_e32 vcc, 0, v26
	v_cmp_neq_f32_e64 s[2:3], v26, |v26|
	v_lshl_add_u64 v[0:1], v[0:1], 0, s[6:7]
	v_cndmask_b32_e32 v27, 1.0, v6, vcc
	v_frexp_mant_f32_e64 v12, |v27|
	v_cmp_gt_f32_e32 vcc, s10, v12
	v_cmp_lt_f32_e64 s[26:27], |v27|, 1.0
	s_xor_b64 s[2:3], s[2:3], s[26:27]
	v_cndmask_b32_e64 v13, 1.0, 2.0, vcc
	v_mul_f32_e32 v12, v12, v13
	v_add_f32_e32 v15, 1.0, v12
	v_rcp_f32_e32 v20, v15
	v_add_f32_e32 v13, -1.0, v15
	v_sub_f32_e32 v17, v12, v13
	v_add_f32_e32 v13, -1.0, v12
	v_mul_f32_e32 v21, v13, v20
	v_mul_f32_e32 v14, v15, v21
	v_fma_f32 v16, v21, v15, -v14
	v_fmac_f32_e32 v16, v21, v17
	v_add_f32_e32 v12, v14, v16
	v_sub_f32_e32 v15, v13, v12
	v_pk_add_f32 v[18:19], v[12:13], v[14:15] neg_lo:[0,1] neg_hi:[0,1]
	v_mov_b32_e32 v17, v12
	v_pk_add_f32 v[12:13], v[18:19], v[16:17] neg_lo:[0,1] neg_hi:[0,1]
	v_cmp_class_f32_e64 s[26:27], v27, s20
	v_add_f32_e32 v12, v12, v13
	v_add_f32_e32 v12, v15, v12
	v_mul_f32_e32 v13, v20, v12
	v_add_f32_e32 v12, v21, v13
	v_sub_f32_e32 v14, v12, v21
	v_sub_f32_e32 v22, v13, v14
	v_mul_f32_e32 v13, v12, v12
	v_fma_f32 v15, v12, v12, -v13
	v_add_f32_e32 v14, v22, v22
	v_fmac_f32_e32 v15, v12, v14
	v_add_f32_e32 v14, v13, v15
	v_fmamk_f32 v16, v14, 0x3e76c4e1, v7
	v_fmaak_f32 v16, v14, v16, 0x3ecccdef
	v_sub_f32_e32 v13, v14, v13
	v_sub_f32_e32 v23, v15, v13
	v_mul_f32_e32 v13, v14, v16
	v_fma_f32 v15, v14, v16, -v13
	v_fmac_f32_e32 v15, v23, v16
	v_add_f32_e32 v16, v13, v15
	v_add_f32_e32 v17, 0x3f2aaaaa, v16
	v_sub_f32_e32 v13, v16, v13
	v_sub_f32_e32 v13, v15, v13
	v_add_f32_e32 v15, 0xbf2aaaaa, v17
	v_add_f32_e32 v13, 0x31739010, v13
	v_sub_f32_e32 v15, v16, v15
	v_pk_mul_f32 v[18:19], v[12:13], v[14:15]
	v_pk_add_f32 v[20:21], v[12:13], v[14:15]
	v_fma_f32 v16, v14, v12, -v18
	v_fmac_f32_e32 v16, v14, v22
	v_mov_b32_e32 v19, v21
	v_fmac_f32_e32 v16, v23, v12
	v_pk_add_f32 v[14:15], v[18:19], v[16:17]
	v_ldexp_f32 v24, v22, 1
	v_sub_f32_e32 v13, v14, v18
	v_sub_f32_e32 v13, v16, v13
	;; [unrolled: 1-line block ×3, first 2 shown]
	v_add_f32_e32 v20, v21, v16
	v_pk_mul_f32 v[16:17], v[14:15], v[14:15] op_sel:[0,1] op_sel_hi:[1,0]
	v_cvt_f64_f32_e64 v[18:19], |v27|
	v_frexp_exp_i32_f64_e32 v17, v[18:19]
	v_subbrev_co_u32_e32 v17, vcc, 0, v17, vcc
	v_cvt_f32_i32_e32 v17, v17
	v_fma_f32 v18, v14, v15, -v16
	v_fmac_f32_e32 v18, v14, v20
	v_fmac_f32_e32 v18, v13, v15
	v_mul_f32_e32 v14, 0x3f317218, v17
	v_fma_f32 v20, v17, s11, -v14
	v_fmac_f32_e32 v20, 0xb102e308, v17
	v_ldexp_f32 v21, v12, 1
	v_add_f32_e32 v15, v16, v18
	v_pk_add_f32 v[12:13], v[14:15], v[20:21]
	v_mov_b32_e32 v22, v15
	v_mov_b32_e32 v23, v13
	;; [unrolled: 1-line block ×3, first 2 shown]
	v_pk_add_f32 v[16:17], v[22:23], v[16:17] neg_lo:[0,1] neg_hi:[0,1]
	v_mov_b32_e32 v19, v15
	v_pk_add_f32 v[16:17], v[18:19], v[16:17] neg_lo:[0,1] neg_hi:[0,1]
	v_mov_b32_e32 v21, v12
	v_add_f32_e32 v15, v24, v16
	v_add_f32_e32 v15, v15, v17
	v_pk_add_f32 v[16:17], v[12:13], v[14:15] neg_lo:[0,1] neg_hi:[0,1]
	v_pk_add_f32 v[18:19], v[12:13], v[14:15]
	v_mov_b32_e32 v14, v15
	v_mov_b32_e32 v17, v19
	v_pk_add_f32 v[22:23], v[20:21], v[16:17] neg_lo:[0,1] neg_hi:[0,1]
	v_pk_add_f32 v[16:17], v[20:21], v[16:17]
	v_mov_b32_e32 v15, v12
	v_pk_add_f32 v[20:21], v[16:17], v[12:13] op_sel:[1,0] op_sel_hi:[0,1] neg_lo:[0,1] neg_hi:[0,1]
	v_pk_add_f32 v[24:25], v[18:19], v[20:21] op_sel_hi:[1,0] neg_lo:[0,1] neg_hi:[0,1]
	v_mov_b32_e32 v18, v19
	v_mov_b32_e32 v19, v17
	v_pk_mov_b32 v[20:21], v[12:13], v[20:21] op_sel:[1,0]
	v_mov_b32_e32 v24, v22
	v_pk_add_f32 v[18:19], v[18:19], v[20:21] neg_lo:[0,1] neg_hi:[0,1]
	v_mov_b32_e32 v23, v17
	v_pk_add_f32 v[12:13], v[14:15], v[18:19] neg_lo:[0,1] neg_hi:[0,1]
	s_nop 0
	v_pk_add_f32 v[14:15], v[24:25], v[12:13]
	s_nop 0
	v_pk_add_f32 v[18:19], v[14:15], v[14:15] op_sel:[0,1] op_sel_hi:[1,0]
	s_nop 0
	v_pk_add_f32 v[16:17], v[16:17], v[18:19] op_sel:[1,0] op_sel_hi:[0,1]
	v_mov_b32_e32 v15, v16
	v_pk_add_f32 v[20:21], v[14:15], v[22:23] neg_lo:[0,1] neg_hi:[0,1]
	v_mov_b32_e32 v13, v18
	v_sub_f32_e32 v14, v14, v20
	v_pk_add_f32 v[12:13], v[12:13], v[20:21] neg_lo:[0,1] neg_hi:[0,1]
	v_sub_f32_e32 v14, v22, v14
	v_add_f32_e32 v12, v12, v14
	v_add_f32_e32 v12, v12, v13
	;; [unrolled: 1-line block ×3, first 2 shown]
	v_sub_f32_e32 v14, v13, v16
	v_sub_f32_e32 v12, v12, v14
	v_mul_f32_e32 v14, v26, v13
	v_fma_f32 v13, v26, v13, -v14
	v_fmac_f32_e32 v13, v26, v12
	v_add_f32_e32 v12, v14, v13
	v_cmp_class_f32_e64 vcc, v14, s20
	v_sub_f32_e32 v15, v12, v14
	v_sub_f32_e32 v13, v13, v15
	v_cndmask_b32_e32 v12, v12, v14, vcc
	v_cmp_eq_f32_e32 vcc, s22, v12
	s_nop 1
	v_cndmask_b32_e32 v14, 0, v8, vcc
	v_sub_f32_e32 v15, v12, v14
	v_mul_f32_e32 v16, 0x3fb8aa3b, v15
	v_fma_f32 v17, v15, s23, -v16
	v_rndne_f32_e32 v18, v16
	v_fmac_f32_e32 v17, 0x32a5705f, v15
	v_sub_f32_e32 v16, v16, v18
	v_add_f32_e32 v16, v16, v17
	v_exp_f32_e32 v16, v16
	v_cvt_i32_f32_e32 v17, v18
	v_cmp_neq_f32_e64 vcc, |v12|, s21
	s_nop 1
	v_cndmask_b32_e32 v12, 0, v13, vcc
	v_ldexp_f32 v13, v16, v17
	v_cmp_ngt_f32_e32 vcc, s24, v15
	v_add_f32_e32 v12, v14, v12
	s_nop 0
	v_cndmask_b32_e32 v13, 0, v13, vcc
	v_cmp_nlt_f32_e32 vcc, s22, v15
	s_nop 1
	v_cndmask_b32_e32 v13, v9, v13, vcc
	v_fma_f32 v12, v13, v12, v13
	v_cmp_class_f32_e64 vcc, v13, s20
	s_nop 1
	v_cndmask_b32_e32 v12, v12, v13, vcc
	v_trunc_f32_e32 v13, v26
	v_cmp_eq_f32_e32 vcc, v13, v26
	v_mul_f32_e32 v13, 0.5, v26
	v_trunc_f32_e32 v14, v13
	v_cmp_neq_f32_e64 s[0:1], v14, v13
	s_and_b64 s[0:1], vcc, s[0:1]
	s_nop 0
	v_cndmask_b32_e64 v13, 1.0, v27, s[0:1]
	v_bfi_b32 v12, s25, v12, v13
	v_cndmask_b32_e32 v13, v10, v12, vcc
	v_cmp_gt_f32_e32 vcc, 0, v27
	v_cndmask_b32_e64 v14, 0, v27, s[0:1]
	s_nop 0
	v_cndmask_b32_e32 v12, v12, v13, vcc
	v_cndmask_b32_e64 v13, v9, 0, s[2:3]
	v_cmp_neq_f32_e64 vcc, |v27|, 1.0
	v_cmp_gt_f32_e64 s[2:3], 0, v26
	s_nop 0
	v_cndmask_b32_e32 v13, 1.0, v13, vcc
	v_cmp_class_f32_e64 vcc, v26, s20
	s_nop 1
	v_cndmask_b32_e32 v12, v12, v13, vcc
	v_cmp_eq_f32_e32 vcc, 0, v27
	s_xor_b64 s[2:3], s[2:3], vcc
	v_cndmask_b32_e64 v13, v9, 0, s[2:3]
	v_bfi_b32 v13, s25, v13, v14
	s_or_b64 vcc, vcc, s[26:27]
	v_cndmask_b32_e32 v12, v12, v13, vcc
	v_cmp_o_f32_e32 vcc, v27, v26
	s_nop 1
	v_cndmask_b32_e32 v12, v10, v12, vcc
	v_subrev_co_u32_e32 v2, vcc, s6, v2
	global_store_dword v[4:5], v12, off
	s_nop 0
	v_subb_co_u32_e32 v3, vcc, v3, v11, vcc
	v_cmp_le_i32_e32 vcc, s18, v0
	s_or_b64 s[16:17], vcc, s[16:17]
	v_lshl_add_u64 v[4:5], v[4:5], 0, s[14:15]
	s_andn2_b64 exec, exec, s[16:17]
	s_cbranch_execz .LBB34_7
.LBB34_3:                               ; =>This Inner Loop Header: Depth=1
	v_cmp_le_i64_e32 vcc, s[4:5], v[0:1]
                                        ; implicit-def: $vgpr12
	s_and_saveexec_b64 s[0:1], vcc
	s_xor_b64 s[0:1], exec, s[0:1]
	s_cbranch_execz .LBB34_5
; %bb.4:                                ;   in Loop: Header=BB34_3 Depth=1
	v_xor_b32_e32 v13, v2, v3
	v_ffbh_i32_e32 v12, v3
	v_ashrrev_i32_e32 v13, 31, v13
	v_add_u32_e32 v12, -1, v12
	v_add_u32_e32 v13, 32, v13
	v_min_u32_e32 v14, v12, v13
	v_lshlrev_b64 v[12:13], v14, v[2:3]
	v_min_u32_e32 v12, 1, v12
	v_or_b32_e32 v12, v13, v12
	v_cvt_f32_i32_e32 v12, v12
	v_sub_u32_e32 v13, 32, v14
	v_ldexp_f32 v12, v12, v13
	v_mov_b32_e32 v13, s9
	v_fma_f32 v12, -s19, v12, v13
.LBB34_5:                               ;   in Loop: Header=BB34_3 Depth=1
	s_andn2_saveexec_b64 s[0:1], s[0:1]
	s_cbranch_execz .LBB34_2
; %bb.6:                                ;   in Loop: Header=BB34_3 Depth=1
	v_cvt_f32_i32_e32 v12, v0
	v_mov_b32_e32 v13, s8
	v_fma_f32 v12, s19, v12, v13
	s_branch .LBB34_2
.LBB34_7:
	s_endpgm
	.section	.rodata,"a",@progbits
	.p2align	6, 0x0
	.amdhsa_kernel _ZN12_GLOBAL__N_141elementwise_kernel_with_index_grid_strideIiZZZN2at6native17logspace_cuda_outERKN3c106ScalarES6_ldRNS1_6TensorEENKUlvE0_clEvENKUlvE0_clEvEUllE_EEvT_T0_PN15function_traitsISD_E11result_typeE
		.amdhsa_group_segment_fixed_size 0
		.amdhsa_private_segment_fixed_size 0
		.amdhsa_kernarg_size 312
		.amdhsa_user_sgpr_count 2
		.amdhsa_user_sgpr_dispatch_ptr 0
		.amdhsa_user_sgpr_queue_ptr 0
		.amdhsa_user_sgpr_kernarg_segment_ptr 1
		.amdhsa_user_sgpr_dispatch_id 0
		.amdhsa_user_sgpr_kernarg_preload_length 0
		.amdhsa_user_sgpr_kernarg_preload_offset 0
		.amdhsa_user_sgpr_private_segment_size 0
		.amdhsa_uses_dynamic_stack 0
		.amdhsa_enable_private_segment 0
		.amdhsa_system_sgpr_workgroup_id_x 1
		.amdhsa_system_sgpr_workgroup_id_y 0
		.amdhsa_system_sgpr_workgroup_id_z 0
		.amdhsa_system_sgpr_workgroup_info 0
		.amdhsa_system_vgpr_workitem_id 0
		.amdhsa_next_free_vgpr 28
		.amdhsa_next_free_sgpr 28
		.amdhsa_accum_offset 28
		.amdhsa_reserve_vcc 1
		.amdhsa_float_round_mode_32 0
		.amdhsa_float_round_mode_16_64 0
		.amdhsa_float_denorm_mode_32 3
		.amdhsa_float_denorm_mode_16_64 3
		.amdhsa_dx10_clamp 1
		.amdhsa_ieee_mode 1
		.amdhsa_fp16_overflow 0
		.amdhsa_tg_split 0
		.amdhsa_exception_fp_ieee_invalid_op 0
		.amdhsa_exception_fp_denorm_src 0
		.amdhsa_exception_fp_ieee_div_zero 0
		.amdhsa_exception_fp_ieee_overflow 0
		.amdhsa_exception_fp_ieee_underflow 0
		.amdhsa_exception_fp_ieee_inexact 0
		.amdhsa_exception_int_div_zero 0
	.end_amdhsa_kernel
	.section	.text._ZN12_GLOBAL__N_141elementwise_kernel_with_index_grid_strideIiZZZN2at6native17logspace_cuda_outERKN3c106ScalarES6_ldRNS1_6TensorEENKUlvE0_clEvENKUlvE0_clEvEUllE_EEvT_T0_PN15function_traitsISD_E11result_typeE,"axG",@progbits,_ZN12_GLOBAL__N_141elementwise_kernel_with_index_grid_strideIiZZZN2at6native17logspace_cuda_outERKN3c106ScalarES6_ldRNS1_6TensorEENKUlvE0_clEvENKUlvE0_clEvEUllE_EEvT_T0_PN15function_traitsISD_E11result_typeE,comdat
.Lfunc_end34:
	.size	_ZN12_GLOBAL__N_141elementwise_kernel_with_index_grid_strideIiZZZN2at6native17logspace_cuda_outERKN3c106ScalarES6_ldRNS1_6TensorEENKUlvE0_clEvENKUlvE0_clEvEUllE_EEvT_T0_PN15function_traitsISD_E11result_typeE, .Lfunc_end34-_ZN12_GLOBAL__N_141elementwise_kernel_with_index_grid_strideIiZZZN2at6native17logspace_cuda_outERKN3c106ScalarES6_ldRNS1_6TensorEENKUlvE0_clEvENKUlvE0_clEvEUllE_EEvT_T0_PN15function_traitsISD_E11result_typeE
                                        ; -- End function
	.set _ZN12_GLOBAL__N_141elementwise_kernel_with_index_grid_strideIiZZZN2at6native17logspace_cuda_outERKN3c106ScalarES6_ldRNS1_6TensorEENKUlvE0_clEvENKUlvE0_clEvEUllE_EEvT_T0_PN15function_traitsISD_E11result_typeE.num_vgpr, 28
	.set _ZN12_GLOBAL__N_141elementwise_kernel_with_index_grid_strideIiZZZN2at6native17logspace_cuda_outERKN3c106ScalarES6_ldRNS1_6TensorEENKUlvE0_clEvENKUlvE0_clEvEUllE_EEvT_T0_PN15function_traitsISD_E11result_typeE.num_agpr, 0
	.set _ZN12_GLOBAL__N_141elementwise_kernel_with_index_grid_strideIiZZZN2at6native17logspace_cuda_outERKN3c106ScalarES6_ldRNS1_6TensorEENKUlvE0_clEvENKUlvE0_clEvEUllE_EEvT_T0_PN15function_traitsISD_E11result_typeE.numbered_sgpr, 28
	.set _ZN12_GLOBAL__N_141elementwise_kernel_with_index_grid_strideIiZZZN2at6native17logspace_cuda_outERKN3c106ScalarES6_ldRNS1_6TensorEENKUlvE0_clEvENKUlvE0_clEvEUllE_EEvT_T0_PN15function_traitsISD_E11result_typeE.num_named_barrier, 0
	.set _ZN12_GLOBAL__N_141elementwise_kernel_with_index_grid_strideIiZZZN2at6native17logspace_cuda_outERKN3c106ScalarES6_ldRNS1_6TensorEENKUlvE0_clEvENKUlvE0_clEvEUllE_EEvT_T0_PN15function_traitsISD_E11result_typeE.private_seg_size, 0
	.set _ZN12_GLOBAL__N_141elementwise_kernel_with_index_grid_strideIiZZZN2at6native17logspace_cuda_outERKN3c106ScalarES6_ldRNS1_6TensorEENKUlvE0_clEvENKUlvE0_clEvEUllE_EEvT_T0_PN15function_traitsISD_E11result_typeE.uses_vcc, 1
	.set _ZN12_GLOBAL__N_141elementwise_kernel_with_index_grid_strideIiZZZN2at6native17logspace_cuda_outERKN3c106ScalarES6_ldRNS1_6TensorEENKUlvE0_clEvENKUlvE0_clEvEUllE_EEvT_T0_PN15function_traitsISD_E11result_typeE.uses_flat_scratch, 0
	.set _ZN12_GLOBAL__N_141elementwise_kernel_with_index_grid_strideIiZZZN2at6native17logspace_cuda_outERKN3c106ScalarES6_ldRNS1_6TensorEENKUlvE0_clEvENKUlvE0_clEvEUllE_EEvT_T0_PN15function_traitsISD_E11result_typeE.has_dyn_sized_stack, 0
	.set _ZN12_GLOBAL__N_141elementwise_kernel_with_index_grid_strideIiZZZN2at6native17logspace_cuda_outERKN3c106ScalarES6_ldRNS1_6TensorEENKUlvE0_clEvENKUlvE0_clEvEUllE_EEvT_T0_PN15function_traitsISD_E11result_typeE.has_recursion, 0
	.set _ZN12_GLOBAL__N_141elementwise_kernel_with_index_grid_strideIiZZZN2at6native17logspace_cuda_outERKN3c106ScalarES6_ldRNS1_6TensorEENKUlvE0_clEvENKUlvE0_clEvEUllE_EEvT_T0_PN15function_traitsISD_E11result_typeE.has_indirect_call, 0
	.section	.AMDGPU.csdata,"",@progbits
; Kernel info:
; codeLenInByte = 1424
; TotalNumSgprs: 34
; NumVgprs: 28
; NumAgprs: 0
; TotalNumVgprs: 28
; ScratchSize: 0
; MemoryBound: 0
; FloatMode: 240
; IeeeMode: 1
; LDSByteSize: 0 bytes/workgroup (compile time only)
; SGPRBlocks: 4
; VGPRBlocks: 3
; NumSGPRsForWavesPerEU: 34
; NumVGPRsForWavesPerEU: 28
; AccumOffset: 28
; Occupancy: 8
; WaveLimiterHint : 0
; COMPUTE_PGM_RSRC2:SCRATCH_EN: 0
; COMPUTE_PGM_RSRC2:USER_SGPR: 2
; COMPUTE_PGM_RSRC2:TRAP_HANDLER: 0
; COMPUTE_PGM_RSRC2:TGID_X_EN: 1
; COMPUTE_PGM_RSRC2:TGID_Y_EN: 0
; COMPUTE_PGM_RSRC2:TGID_Z_EN: 0
; COMPUTE_PGM_RSRC2:TIDIG_COMP_CNT: 0
; COMPUTE_PGM_RSRC3_GFX90A:ACCUM_OFFSET: 6
; COMPUTE_PGM_RSRC3_GFX90A:TG_SPLIT: 0
	.section	.text._ZN12_GLOBAL__N_141elementwise_kernel_with_index_grid_strideIlZZZN2at6native17logspace_cuda_outERKN3c106ScalarES6_ldRNS1_6TensorEENKUlvE0_clEvENKUlvE0_clEvEUllE_EEvT_T0_PN15function_traitsISD_E11result_typeE,"axG",@progbits,_ZN12_GLOBAL__N_141elementwise_kernel_with_index_grid_strideIlZZZN2at6native17logspace_cuda_outERKN3c106ScalarES6_ldRNS1_6TensorEENKUlvE0_clEvENKUlvE0_clEvEUllE_EEvT_T0_PN15function_traitsISD_E11result_typeE,comdat
	.globl	_ZN12_GLOBAL__N_141elementwise_kernel_with_index_grid_strideIlZZZN2at6native17logspace_cuda_outERKN3c106ScalarES6_ldRNS1_6TensorEENKUlvE0_clEvENKUlvE0_clEvEUllE_EEvT_T0_PN15function_traitsISD_E11result_typeE ; -- Begin function _ZN12_GLOBAL__N_141elementwise_kernel_with_index_grid_strideIlZZZN2at6native17logspace_cuda_outERKN3c106ScalarES6_ldRNS1_6TensorEENKUlvE0_clEvENKUlvE0_clEvEUllE_EEvT_T0_PN15function_traitsISD_E11result_typeE
	.p2align	8
	.type	_ZN12_GLOBAL__N_141elementwise_kernel_with_index_grid_strideIlZZZN2at6native17logspace_cuda_outERKN3c106ScalarES6_ldRNS1_6TensorEENKUlvE0_clEvENKUlvE0_clEvEUllE_EEvT_T0_PN15function_traitsISD_E11result_typeE,@function
_ZN12_GLOBAL__N_141elementwise_kernel_with_index_grid_strideIlZZZN2at6native17logspace_cuda_outERKN3c106ScalarES6_ldRNS1_6TensorEENKUlvE0_clEvENKUlvE0_clEvEUllE_EEvT_T0_PN15function_traitsISD_E11result_typeE: ; @_ZN12_GLOBAL__N_141elementwise_kernel_with_index_grid_strideIlZZZN2at6native17logspace_cuda_outERKN3c106ScalarES6_ldRNS1_6TensorEENKUlvE0_clEvENKUlvE0_clEvEUllE_EEvT_T0_PN15function_traitsISD_E11result_typeE
; %bb.0:
	s_load_dword s3, s[0:1], 0x44
	s_load_dwordx2 s[12:13], s[0:1], 0x0
	s_add_u32 s14, s0, 56
	s_addc_u32 s15, s1, 0
	v_mov_b32_e32 v1, 0
	s_waitcnt lgkmcnt(0)
	s_and_b32 s3, s3, 0xffff
	v_mov_b32_e32 v2, s2
	v_mad_u64_u32 v[0:1], s[4:5], s3, v2, v[0:1]
	v_cmp_gt_i64_e32 vcc, s[12:13], v[0:1]
	s_and_saveexec_b64 s[4:5], vcc
	s_cbranch_execz .LBB35_7
; %bb.1:
	s_load_dwordx4 s[4:7], s[0:1], 0x28
	s_load_dword s20, s[0:1], 0x20
	s_load_dword s2, s[14:15], 0x0
	s_load_dwordx4 s[8:11], s[0:1], 0x8
	s_load_dwordx2 s[16:17], s[0:1], 0x18
	s_waitcnt lgkmcnt(0)
	v_mov_b32_e32 v4, s6
	v_mov_b32_e32 v5, s7
	s_mul_hi_u32 s7, s3, s2
	s_mul_i32 s6, s3, s2
	v_not_b32_e32 v3, v1
	v_not_b32_e32 v2, v0
                                        ; implicit-def: $vgpr8
	v_cmp_eq_f32_e64 s[14:15], s10, 1.0
	v_lshl_add_u64 v[2:3], v[2:3], 0, s[16:17]
	v_lshl_add_u64 v[4:5], v[0:1], 2, v[4:5]
	s_lshl_b64 s[16:17], s[6:7], 2
	s_mov_b64 s[18:19], 0
	v_mov_b32_e32 v6, s10
	s_mov_b32 s10, 0x3f2aaaab
	v_mov_b32_e32 v7, 0x3e91f4c4
	s_mov_b32 s11, 0x3f317218
	s_movk_i32 s21, 0x204
	s_mov_b32 s22, 0x7f800000
	s_mov_b32 s23, 0x42b17218
	v_mov_b32_e32 v8, 0x37000000
	s_mov_b32 s24, 0x3fb8aa3b
	s_mov_b32 s25, 0xc2ce8ed0
	v_mov_b32_e32 v9, 0x7f800000
	s_brev_b32 s26, -2
	v_mov_b32_e32 v10, 0x7fc00000
	v_mov_b32_e32 v11, s7
	s_branch .LBB35_3
.LBB35_2:                               ;   in Loop: Header=BB35_3 Depth=1
	s_or_b64 exec, exec, s[0:1]
	v_cndmask_b32_e64 v26, v12, 1.0, s[14:15]
	v_cmp_neq_f32_e32 vcc, 0, v26
	v_cmp_neq_f32_e64 s[2:3], v26, |v26|
	v_lshl_add_u64 v[0:1], v[0:1], 0, s[6:7]
	v_cndmask_b32_e32 v27, 1.0, v6, vcc
	v_frexp_mant_f32_e64 v12, |v27|
	v_cmp_gt_f32_e32 vcc, s10, v12
	v_cmp_lt_f32_e64 s[28:29], |v27|, 1.0
	s_xor_b64 s[2:3], s[2:3], s[28:29]
	v_cndmask_b32_e64 v13, 1.0, 2.0, vcc
	v_mul_f32_e32 v12, v12, v13
	v_add_f32_e32 v15, 1.0, v12
	v_rcp_f32_e32 v20, v15
	v_add_f32_e32 v13, -1.0, v15
	v_sub_f32_e32 v17, v12, v13
	v_add_f32_e32 v13, -1.0, v12
	v_mul_f32_e32 v21, v13, v20
	v_mul_f32_e32 v14, v15, v21
	v_fma_f32 v16, v21, v15, -v14
	v_fmac_f32_e32 v16, v21, v17
	v_add_f32_e32 v12, v14, v16
	v_sub_f32_e32 v15, v13, v12
	v_pk_add_f32 v[18:19], v[12:13], v[14:15] neg_lo:[0,1] neg_hi:[0,1]
	v_mov_b32_e32 v17, v12
	v_pk_add_f32 v[12:13], v[18:19], v[16:17] neg_lo:[0,1] neg_hi:[0,1]
	v_cmp_class_f32_e64 s[28:29], v27, s21
	v_add_f32_e32 v12, v12, v13
	v_add_f32_e32 v12, v15, v12
	v_mul_f32_e32 v13, v20, v12
	v_add_f32_e32 v12, v21, v13
	v_sub_f32_e32 v14, v12, v21
	v_sub_f32_e32 v22, v13, v14
	v_mul_f32_e32 v13, v12, v12
	v_fma_f32 v15, v12, v12, -v13
	v_add_f32_e32 v14, v22, v22
	v_fmac_f32_e32 v15, v12, v14
	v_add_f32_e32 v14, v13, v15
	v_fmamk_f32 v16, v14, 0x3e76c4e1, v7
	v_fmaak_f32 v16, v14, v16, 0x3ecccdef
	v_sub_f32_e32 v13, v14, v13
	v_sub_f32_e32 v23, v15, v13
	v_mul_f32_e32 v13, v14, v16
	v_fma_f32 v15, v14, v16, -v13
	v_fmac_f32_e32 v15, v23, v16
	v_add_f32_e32 v16, v13, v15
	v_add_f32_e32 v17, 0x3f2aaaaa, v16
	v_sub_f32_e32 v13, v16, v13
	v_sub_f32_e32 v13, v15, v13
	v_add_f32_e32 v15, 0xbf2aaaaa, v17
	v_add_f32_e32 v13, 0x31739010, v13
	v_sub_f32_e32 v15, v16, v15
	v_pk_mul_f32 v[18:19], v[12:13], v[14:15]
	v_pk_add_f32 v[20:21], v[12:13], v[14:15]
	v_fma_f32 v16, v14, v12, -v18
	v_fmac_f32_e32 v16, v14, v22
	v_mov_b32_e32 v19, v21
	v_fmac_f32_e32 v16, v23, v12
	v_pk_add_f32 v[14:15], v[18:19], v[16:17]
	v_ldexp_f32 v24, v22, 1
	v_sub_f32_e32 v13, v14, v18
	v_sub_f32_e32 v13, v16, v13
	;; [unrolled: 1-line block ×3, first 2 shown]
	v_add_f32_e32 v20, v21, v16
	v_pk_mul_f32 v[16:17], v[14:15], v[14:15] op_sel:[0,1] op_sel_hi:[1,0]
	v_cvt_f64_f32_e64 v[18:19], |v27|
	v_frexp_exp_i32_f64_e32 v17, v[18:19]
	v_subbrev_co_u32_e32 v17, vcc, 0, v17, vcc
	v_cvt_f32_i32_e32 v17, v17
	v_fma_f32 v18, v14, v15, -v16
	v_fmac_f32_e32 v18, v14, v20
	v_fmac_f32_e32 v18, v13, v15
	v_mul_f32_e32 v14, 0x3f317218, v17
	v_fma_f32 v20, v17, s11, -v14
	v_fmac_f32_e32 v20, 0xb102e308, v17
	v_ldexp_f32 v21, v12, 1
	v_add_f32_e32 v15, v16, v18
	v_pk_add_f32 v[12:13], v[14:15], v[20:21]
	v_mov_b32_e32 v22, v15
	v_mov_b32_e32 v23, v13
	;; [unrolled: 1-line block ×3, first 2 shown]
	v_pk_add_f32 v[16:17], v[22:23], v[16:17] neg_lo:[0,1] neg_hi:[0,1]
	v_mov_b32_e32 v19, v15
	v_pk_add_f32 v[16:17], v[18:19], v[16:17] neg_lo:[0,1] neg_hi:[0,1]
	v_mov_b32_e32 v21, v12
	v_add_f32_e32 v15, v24, v16
	v_add_f32_e32 v15, v15, v17
	v_pk_add_f32 v[16:17], v[12:13], v[14:15] neg_lo:[0,1] neg_hi:[0,1]
	v_pk_add_f32 v[18:19], v[12:13], v[14:15]
	v_mov_b32_e32 v14, v15
	v_mov_b32_e32 v17, v19
	v_pk_add_f32 v[22:23], v[20:21], v[16:17] neg_lo:[0,1] neg_hi:[0,1]
	v_pk_add_f32 v[16:17], v[20:21], v[16:17]
	v_mov_b32_e32 v15, v12
	v_pk_add_f32 v[20:21], v[16:17], v[12:13] op_sel:[1,0] op_sel_hi:[0,1] neg_lo:[0,1] neg_hi:[0,1]
	v_pk_add_f32 v[24:25], v[18:19], v[20:21] op_sel_hi:[1,0] neg_lo:[0,1] neg_hi:[0,1]
	v_mov_b32_e32 v18, v19
	v_mov_b32_e32 v19, v17
	v_pk_mov_b32 v[20:21], v[12:13], v[20:21] op_sel:[1,0]
	v_mov_b32_e32 v24, v22
	v_pk_add_f32 v[18:19], v[18:19], v[20:21] neg_lo:[0,1] neg_hi:[0,1]
	v_mov_b32_e32 v23, v17
	v_pk_add_f32 v[12:13], v[14:15], v[18:19] neg_lo:[0,1] neg_hi:[0,1]
	s_nop 0
	v_pk_add_f32 v[14:15], v[24:25], v[12:13]
	s_nop 0
	v_pk_add_f32 v[18:19], v[14:15], v[14:15] op_sel:[0,1] op_sel_hi:[1,0]
	s_nop 0
	v_pk_add_f32 v[16:17], v[16:17], v[18:19] op_sel:[1,0] op_sel_hi:[0,1]
	v_mov_b32_e32 v15, v16
	v_pk_add_f32 v[20:21], v[14:15], v[22:23] neg_lo:[0,1] neg_hi:[0,1]
	v_mov_b32_e32 v13, v18
	v_sub_f32_e32 v14, v14, v20
	v_pk_add_f32 v[12:13], v[12:13], v[20:21] neg_lo:[0,1] neg_hi:[0,1]
	v_sub_f32_e32 v14, v22, v14
	v_add_f32_e32 v12, v12, v14
	v_add_f32_e32 v12, v12, v13
	;; [unrolled: 1-line block ×3, first 2 shown]
	v_sub_f32_e32 v14, v13, v16
	v_sub_f32_e32 v12, v12, v14
	v_mul_f32_e32 v14, v26, v13
	v_fma_f32 v13, v26, v13, -v14
	v_fmac_f32_e32 v13, v26, v12
	v_add_f32_e32 v12, v14, v13
	v_cmp_class_f32_e64 vcc, v14, s21
	v_sub_f32_e32 v15, v12, v14
	v_sub_f32_e32 v13, v13, v15
	v_cndmask_b32_e32 v12, v12, v14, vcc
	v_cmp_eq_f32_e32 vcc, s23, v12
	s_nop 1
	v_cndmask_b32_e32 v14, 0, v8, vcc
	v_sub_f32_e32 v15, v12, v14
	v_mul_f32_e32 v16, 0x3fb8aa3b, v15
	v_fma_f32 v17, v15, s24, -v16
	v_rndne_f32_e32 v18, v16
	v_fmac_f32_e32 v17, 0x32a5705f, v15
	v_sub_f32_e32 v16, v16, v18
	v_add_f32_e32 v16, v16, v17
	v_exp_f32_e32 v16, v16
	v_cvt_i32_f32_e32 v17, v18
	v_cmp_neq_f32_e64 vcc, |v12|, s22
	s_nop 1
	v_cndmask_b32_e32 v12, 0, v13, vcc
	v_ldexp_f32 v13, v16, v17
	v_cmp_ngt_f32_e32 vcc, s25, v15
	v_add_f32_e32 v12, v14, v12
	s_nop 0
	v_cndmask_b32_e32 v13, 0, v13, vcc
	v_cmp_nlt_f32_e32 vcc, s23, v15
	s_nop 1
	v_cndmask_b32_e32 v13, v9, v13, vcc
	v_fma_f32 v12, v13, v12, v13
	v_cmp_class_f32_e64 vcc, v13, s21
	s_nop 1
	v_cndmask_b32_e32 v12, v12, v13, vcc
	v_trunc_f32_e32 v13, v26
	v_cmp_eq_f32_e32 vcc, v13, v26
	v_mul_f32_e32 v13, 0.5, v26
	v_trunc_f32_e32 v14, v13
	v_cmp_neq_f32_e64 s[0:1], v14, v13
	s_and_b64 s[0:1], vcc, s[0:1]
	s_nop 0
	v_cndmask_b32_e64 v13, 1.0, v27, s[0:1]
	v_bfi_b32 v12, s26, v12, v13
	v_cndmask_b32_e32 v13, v10, v12, vcc
	v_cmp_gt_f32_e32 vcc, 0, v27
	v_cndmask_b32_e64 v14, 0, v27, s[0:1]
	s_nop 0
	v_cndmask_b32_e32 v12, v12, v13, vcc
	v_cndmask_b32_e64 v13, v9, 0, s[2:3]
	v_cmp_neq_f32_e64 vcc, |v27|, 1.0
	v_cmp_gt_f32_e64 s[2:3], 0, v26
	s_nop 0
	v_cndmask_b32_e32 v13, 1.0, v13, vcc
	v_cmp_class_f32_e64 vcc, v26, s21
	s_nop 1
	v_cndmask_b32_e32 v12, v12, v13, vcc
	v_cmp_eq_f32_e32 vcc, 0, v27
	s_xor_b64 s[2:3], s[2:3], vcc
	v_cndmask_b32_e64 v13, v9, 0, s[2:3]
	v_bfi_b32 v13, s26, v13, v14
	s_or_b64 vcc, vcc, s[28:29]
	v_cndmask_b32_e32 v12, v12, v13, vcc
	v_cmp_o_f32_e32 vcc, v27, v26
	s_nop 1
	v_cndmask_b32_e32 v12, v10, v12, vcc
	v_subrev_co_u32_e32 v2, vcc, s6, v2
	global_store_dword v[4:5], v12, off
	s_nop 0
	v_subb_co_u32_e32 v3, vcc, v3, v11, vcc
	v_cmp_le_i64_e32 vcc, s[12:13], v[0:1]
	s_or_b64 s[18:19], vcc, s[18:19]
	v_lshl_add_u64 v[4:5], v[4:5], 0, s[16:17]
	s_andn2_b64 exec, exec, s[18:19]
	s_cbranch_execz .LBB35_7
.LBB35_3:                               ; =>This Inner Loop Header: Depth=1
	v_cmp_le_i64_e32 vcc, s[4:5], v[0:1]
                                        ; implicit-def: $vgpr12
	s_and_saveexec_b64 s[0:1], vcc
	s_xor_b64 s[0:1], exec, s[0:1]
	s_cbranch_execz .LBB35_5
; %bb.4:                                ;   in Loop: Header=BB35_3 Depth=1
	v_xor_b32_e32 v13, v2, v3
	v_ffbh_i32_e32 v12, v3
	v_ashrrev_i32_e32 v13, 31, v13
	v_add_u32_e32 v12, -1, v12
	v_add_u32_e32 v13, 32, v13
	v_min_u32_e32 v14, v12, v13
	v_lshlrev_b64 v[12:13], v14, v[2:3]
	v_min_u32_e32 v12, 1, v12
	v_or_b32_e32 v12, v13, v12
	v_cvt_f32_i32_e32 v12, v12
	v_sub_u32_e32 v13, 32, v14
	v_ldexp_f32 v12, v12, v13
	v_mov_b32_e32 v13, s9
	v_fma_f32 v12, -s20, v12, v13
.LBB35_5:                               ;   in Loop: Header=BB35_3 Depth=1
	s_andn2_saveexec_b64 s[0:1], s[0:1]
	s_cbranch_execz .LBB35_2
; %bb.6:                                ;   in Loop: Header=BB35_3 Depth=1
	v_ffbh_u32_e32 v12, v1
	v_min_u32_e32 v14, 32, v12
	v_lshlrev_b64 v[12:13], v14, v[0:1]
	v_min_u32_e32 v12, 1, v12
	v_or_b32_e32 v12, v13, v12
	v_cvt_f32_u32_e32 v12, v12
	v_sub_u32_e32 v13, 32, v14
	v_ldexp_f32 v12, v12, v13
	v_mov_b32_e32 v13, s8
	v_fma_f32 v12, s20, v12, v13
	s_branch .LBB35_2
.LBB35_7:
	s_endpgm
	.section	.rodata,"a",@progbits
	.p2align	6, 0x0
	.amdhsa_kernel _ZN12_GLOBAL__N_141elementwise_kernel_with_index_grid_strideIlZZZN2at6native17logspace_cuda_outERKN3c106ScalarES6_ldRNS1_6TensorEENKUlvE0_clEvENKUlvE0_clEvEUllE_EEvT_T0_PN15function_traitsISD_E11result_typeE
		.amdhsa_group_segment_fixed_size 0
		.amdhsa_private_segment_fixed_size 0
		.amdhsa_kernarg_size 312
		.amdhsa_user_sgpr_count 2
		.amdhsa_user_sgpr_dispatch_ptr 0
		.amdhsa_user_sgpr_queue_ptr 0
		.amdhsa_user_sgpr_kernarg_segment_ptr 1
		.amdhsa_user_sgpr_dispatch_id 0
		.amdhsa_user_sgpr_kernarg_preload_length 0
		.amdhsa_user_sgpr_kernarg_preload_offset 0
		.amdhsa_user_sgpr_private_segment_size 0
		.amdhsa_uses_dynamic_stack 0
		.amdhsa_enable_private_segment 0
		.amdhsa_system_sgpr_workgroup_id_x 1
		.amdhsa_system_sgpr_workgroup_id_y 0
		.amdhsa_system_sgpr_workgroup_id_z 0
		.amdhsa_system_sgpr_workgroup_info 0
		.amdhsa_system_vgpr_workitem_id 0
		.amdhsa_next_free_vgpr 28
		.amdhsa_next_free_sgpr 30
		.amdhsa_accum_offset 28
		.amdhsa_reserve_vcc 1
		.amdhsa_float_round_mode_32 0
		.amdhsa_float_round_mode_16_64 0
		.amdhsa_float_denorm_mode_32 3
		.amdhsa_float_denorm_mode_16_64 3
		.amdhsa_dx10_clamp 1
		.amdhsa_ieee_mode 1
		.amdhsa_fp16_overflow 0
		.amdhsa_tg_split 0
		.amdhsa_exception_fp_ieee_invalid_op 0
		.amdhsa_exception_fp_denorm_src 0
		.amdhsa_exception_fp_ieee_div_zero 0
		.amdhsa_exception_fp_ieee_overflow 0
		.amdhsa_exception_fp_ieee_underflow 0
		.amdhsa_exception_fp_ieee_inexact 0
		.amdhsa_exception_int_div_zero 0
	.end_amdhsa_kernel
	.section	.text._ZN12_GLOBAL__N_141elementwise_kernel_with_index_grid_strideIlZZZN2at6native17logspace_cuda_outERKN3c106ScalarES6_ldRNS1_6TensorEENKUlvE0_clEvENKUlvE0_clEvEUllE_EEvT_T0_PN15function_traitsISD_E11result_typeE,"axG",@progbits,_ZN12_GLOBAL__N_141elementwise_kernel_with_index_grid_strideIlZZZN2at6native17logspace_cuda_outERKN3c106ScalarES6_ldRNS1_6TensorEENKUlvE0_clEvENKUlvE0_clEvEUllE_EEvT_T0_PN15function_traitsISD_E11result_typeE,comdat
.Lfunc_end35:
	.size	_ZN12_GLOBAL__N_141elementwise_kernel_with_index_grid_strideIlZZZN2at6native17logspace_cuda_outERKN3c106ScalarES6_ldRNS1_6TensorEENKUlvE0_clEvENKUlvE0_clEvEUllE_EEvT_T0_PN15function_traitsISD_E11result_typeE, .Lfunc_end35-_ZN12_GLOBAL__N_141elementwise_kernel_with_index_grid_strideIlZZZN2at6native17logspace_cuda_outERKN3c106ScalarES6_ldRNS1_6TensorEENKUlvE0_clEvENKUlvE0_clEvEUllE_EEvT_T0_PN15function_traitsISD_E11result_typeE
                                        ; -- End function
	.set _ZN12_GLOBAL__N_141elementwise_kernel_with_index_grid_strideIlZZZN2at6native17logspace_cuda_outERKN3c106ScalarES6_ldRNS1_6TensorEENKUlvE0_clEvENKUlvE0_clEvEUllE_EEvT_T0_PN15function_traitsISD_E11result_typeE.num_vgpr, 28
	.set _ZN12_GLOBAL__N_141elementwise_kernel_with_index_grid_strideIlZZZN2at6native17logspace_cuda_outERKN3c106ScalarES6_ldRNS1_6TensorEENKUlvE0_clEvENKUlvE0_clEvEUllE_EEvT_T0_PN15function_traitsISD_E11result_typeE.num_agpr, 0
	.set _ZN12_GLOBAL__N_141elementwise_kernel_with_index_grid_strideIlZZZN2at6native17logspace_cuda_outERKN3c106ScalarES6_ldRNS1_6TensorEENKUlvE0_clEvENKUlvE0_clEvEUllE_EEvT_T0_PN15function_traitsISD_E11result_typeE.numbered_sgpr, 30
	.set _ZN12_GLOBAL__N_141elementwise_kernel_with_index_grid_strideIlZZZN2at6native17logspace_cuda_outERKN3c106ScalarES6_ldRNS1_6TensorEENKUlvE0_clEvENKUlvE0_clEvEUllE_EEvT_T0_PN15function_traitsISD_E11result_typeE.num_named_barrier, 0
	.set _ZN12_GLOBAL__N_141elementwise_kernel_with_index_grid_strideIlZZZN2at6native17logspace_cuda_outERKN3c106ScalarES6_ldRNS1_6TensorEENKUlvE0_clEvENKUlvE0_clEvEUllE_EEvT_T0_PN15function_traitsISD_E11result_typeE.private_seg_size, 0
	.set _ZN12_GLOBAL__N_141elementwise_kernel_with_index_grid_strideIlZZZN2at6native17logspace_cuda_outERKN3c106ScalarES6_ldRNS1_6TensorEENKUlvE0_clEvENKUlvE0_clEvEUllE_EEvT_T0_PN15function_traitsISD_E11result_typeE.uses_vcc, 1
	.set _ZN12_GLOBAL__N_141elementwise_kernel_with_index_grid_strideIlZZZN2at6native17logspace_cuda_outERKN3c106ScalarES6_ldRNS1_6TensorEENKUlvE0_clEvENKUlvE0_clEvEUllE_EEvT_T0_PN15function_traitsISD_E11result_typeE.uses_flat_scratch, 0
	.set _ZN12_GLOBAL__N_141elementwise_kernel_with_index_grid_strideIlZZZN2at6native17logspace_cuda_outERKN3c106ScalarES6_ldRNS1_6TensorEENKUlvE0_clEvENKUlvE0_clEvEUllE_EEvT_T0_PN15function_traitsISD_E11result_typeE.has_dyn_sized_stack, 0
	.set _ZN12_GLOBAL__N_141elementwise_kernel_with_index_grid_strideIlZZZN2at6native17logspace_cuda_outERKN3c106ScalarES6_ldRNS1_6TensorEENKUlvE0_clEvENKUlvE0_clEvEUllE_EEvT_T0_PN15function_traitsISD_E11result_typeE.has_recursion, 0
	.set _ZN12_GLOBAL__N_141elementwise_kernel_with_index_grid_strideIlZZZN2at6native17logspace_cuda_outERKN3c106ScalarES6_ldRNS1_6TensorEENKUlvE0_clEvENKUlvE0_clEvEUllE_EEvT_T0_PN15function_traitsISD_E11result_typeE.has_indirect_call, 0
	.section	.AMDGPU.csdata,"",@progbits
; Kernel info:
; codeLenInByte = 1464
; TotalNumSgprs: 36
; NumVgprs: 28
; NumAgprs: 0
; TotalNumVgprs: 28
; ScratchSize: 0
; MemoryBound: 0
; FloatMode: 240
; IeeeMode: 1
; LDSByteSize: 0 bytes/workgroup (compile time only)
; SGPRBlocks: 4
; VGPRBlocks: 3
; NumSGPRsForWavesPerEU: 36
; NumVGPRsForWavesPerEU: 28
; AccumOffset: 28
; Occupancy: 8
; WaveLimiterHint : 0
; COMPUTE_PGM_RSRC2:SCRATCH_EN: 0
; COMPUTE_PGM_RSRC2:USER_SGPR: 2
; COMPUTE_PGM_RSRC2:TRAP_HANDLER: 0
; COMPUTE_PGM_RSRC2:TGID_X_EN: 1
; COMPUTE_PGM_RSRC2:TGID_Y_EN: 0
; COMPUTE_PGM_RSRC2:TGID_Z_EN: 0
; COMPUTE_PGM_RSRC2:TIDIG_COMP_CNT: 0
; COMPUTE_PGM_RSRC3_GFX90A:ACCUM_OFFSET: 6
; COMPUTE_PGM_RSRC3_GFX90A:TG_SPLIT: 0
	.text
	.p2align	2                               ; -- Begin function _ZN16c10_complex_math3powIdEEN3c107complexIT_EERKS4_S6_
	.type	_ZN16c10_complex_math3powIdEEN3c107complexIT_EERKS4_S6_,@function
_ZN16c10_complex_math3powIdEEN3c107complexIT_EERKS4_S6_: ; @_ZN16c10_complex_math3powIdEEN3c107complexIT_EERKS4_S6_
; %bb.0:
	s_waitcnt vmcnt(0) expcnt(0) lgkmcnt(0)
	v_cmp_o_f64_e32 vcc, v[0:1], v[2:3]
                                        ; implicit-def: $vgpr8_vgpr9
                                        ; implicit-def: $vgpr12_vgpr13
	s_and_saveexec_b64 s[0:1], vcc
	s_xor_b64 s[4:5], exec, s[0:1]
	s_cbranch_execz .LBB36_28
; %bb.1:
	v_and_b32_e32 v16, 0x7fffffff, v1
	v_and_b32_e32 v15, 0x7fffffff, v3
	v_cmp_lt_f64_e64 s[0:1], |v[0:1]|, |v[2:3]|
	s_mov_b32 s2, 0x85ebc8a0
	s_mov_b32 s3, 0x7fd1ccf3
	v_cndmask_b32_e64 v11, v15, v16, s[0:1]
	v_cndmask_b32_e64 v10, v2, v0, s[0:1]
	v_mov_b32_e32 v14, v2
	v_cmp_nlt_f64_e32 vcc, s[2:3], v[10:11]
                                        ; implicit-def: $vgpr8_vgpr9
                                        ; implicit-def: $vgpr12_vgpr13
	s_and_saveexec_b64 s[2:3], vcc
	s_xor_b64 s[6:7], exec, s[2:3]
	s_cbranch_execz .LBB36_25
; %bb.2:
	v_cndmask_b32_e64 v17, v16, v15, s[0:1]
	v_cndmask_b32_e64 v16, v0, v14, s[0:1]
	v_cmp_neq_f64_e32 vcc, 1.0, v[16:17]
                                        ; implicit-def: $vgpr8_vgpr9
                                        ; implicit-def: $vgpr12_vgpr13
	s_and_saveexec_b64 s[2:3], vcc
	s_xor_b64 s[8:9], exec, s[2:3]
	s_cbranch_execz .LBB36_18
; %bb.3:
	v_max_f64 v[8:9], v[10:11], v[10:11]
	v_max_f64 v[12:13], v[16:17], v[16:17]
	s_mov_b32 s2, 0x4ad4b81f
	v_min_f64 v[14:15], v[12:13], v[8:9]
	s_mov_b32 s3, 0x358dee7a
	v_cmp_ngt_f64_e32 vcc, s[2:3], v[14:15]
	s_mov_b32 s2, 0xc57e649a
	v_max_f64 v[8:9], v[12:13], v[8:9]
	s_mov_b32 s3, 0x4a511b0e
	v_cmp_nlt_f64_e64 s[2:3], s[2:3], v[8:9]
	s_and_b64 s[2:3], s[2:3], vcc
                                        ; implicit-def: $vgpr8_vgpr9
                                        ; implicit-def: $vgpr12_vgpr13
	s_and_saveexec_b64 s[10:11], s[2:3]
	s_xor_b64 s[10:11], exec, s[10:11]
	s_cbranch_execz .LBB36_15
; %bb.4:
	v_cmp_le_f64_e32 vcc, 1.0, v[16:17]
                                        ; implicit-def: $vgpr8_vgpr9
                                        ; implicit-def: $vgpr12_vgpr13
	s_and_saveexec_b64 s[2:3], vcc
	s_xor_b64 s[12:13], exec, s[2:3]
	s_cbranch_execz .LBB36_6
; %bb.5:
	v_add_f64 v[8:9], v[16:17], -1.0
	v_add_f64 v[12:13], v[16:17], 1.0
	v_mul_f64 v[12:13], v[8:9], v[12:13]
	v_fmac_f64_e32 v[12:13], v[10:11], v[10:11]
	v_add_f64 v[8:9], v[12:13], 1.0
	v_add_f64 v[10:11], v[8:9], -1.0
	v_add_f64 v[14:15], v[10:11], -v[8:9]
	v_add_f64 v[14:15], v[14:15], 1.0
	v_add_f64 v[10:11], v[12:13], -v[10:11]
	s_mov_b32 s2, 0x55555555
	v_add_f64 v[10:11], v[10:11], v[14:15]
	v_frexp_mant_f64_e32 v[14:15], v[8:9]
	s_mov_b32 s3, 0x3fe55555
	v_frexp_exp_i32_f64_e32 v16, v[8:9]
	v_cmp_gt_f64_e32 vcc, s[2:3], v[14:15]
	s_mov_b32 s2, 0xbf559e2b
	s_mov_b32 s3, 0x3fc3ab76
	v_subbrev_co_u32_e32 v30, vcc, 0, v16, vcc
	v_sub_u32_e32 v14, 0, v30
	v_ldexp_f64 v[8:9], v[8:9], v14
	v_ldexp_f64 v[10:11], v[10:11], v14
	v_add_f64 v[14:15], v[8:9], -1.0
	v_add_f64 v[20:21], v[8:9], 1.0
	v_add_f64 v[16:17], v[14:15], 1.0
	v_add_f64 v[22:23], v[20:21], -1.0
	v_add_f64 v[16:17], v[8:9], -v[16:17]
	v_add_f64 v[8:9], v[8:9], -v[22:23]
	v_add_f64 v[8:9], v[10:11], v[8:9]
	v_add_f64 v[16:17], v[10:11], v[16:17]
	;; [unrolled: 1-line block ×3, first 2 shown]
	v_rcp_f64_e32 v[22:23], v[10:11]
	v_add_f64 v[18:19], v[14:15], v[16:17]
	v_add_f64 v[14:15], v[18:19], -v[14:15]
	v_add_f64 v[14:15], v[16:17], -v[14:15]
	;; [unrolled: 1-line block ×4, first 2 shown]
	v_fma_f64 v[16:17], -v[10:11], v[22:23], 1.0
	v_fmac_f64_e32 v[22:23], v[16:17], v[22:23]
	v_fma_f64 v[16:17], -v[10:11], v[22:23], 1.0
	v_fmac_f64_e32 v[22:23], v[16:17], v[22:23]
	v_mul_f64 v[16:17], v[18:19], v[22:23]
	v_mul_f64 v[20:21], v[10:11], v[16:17]
	v_fma_f64 v[24:25], v[16:17], v[10:11], -v[20:21]
	v_fmac_f64_e32 v[24:25], v[16:17], v[8:9]
	v_add_f64 v[26:27], v[20:21], v[24:25]
	v_add_f64 v[28:29], v[18:19], -v[26:27]
	v_add_f64 v[18:19], v[18:19], -v[28:29]
	;; [unrolled: 1-line block ×4, first 2 shown]
	v_add_f64 v[14:15], v[14:15], v[18:19]
	v_add_f64 v[18:19], v[20:21], -v[24:25]
	v_add_f64 v[14:15], v[18:19], v[14:15]
	v_add_f64 v[18:19], v[28:29], v[14:15]
	v_add_f64 v[20:21], v[28:29], -v[18:19]
	v_add_f64 v[14:15], v[14:15], v[20:21]
	v_mul_f64 v[20:21], v[22:23], v[18:19]
	v_mul_f64 v[24:25], v[10:11], v[20:21]
	v_fma_f64 v[10:11], v[20:21], v[10:11], -v[24:25]
	v_fmac_f64_e32 v[10:11], v[20:21], v[8:9]
	v_add_f64 v[8:9], v[24:25], v[10:11]
	v_add_f64 v[26:27], v[18:19], -v[8:9]
	v_add_f64 v[18:19], v[18:19], -v[26:27]
	;; [unrolled: 1-line block ×4, first 2 shown]
	v_add_f64 v[8:9], v[14:15], v[8:9]
	v_add_f64 v[10:11], v[24:25], -v[10:11]
	v_add_f64 v[8:9], v[10:11], v[8:9]
	v_add_f64 v[10:11], v[16:17], v[20:21]
	;; [unrolled: 1-line block ×3, first 2 shown]
	v_add_f64 v[14:15], v[10:11], -v[16:17]
	v_mul_f64 v[8:9], v[22:23], v[8:9]
	v_add_f64 v[14:15], v[20:21], -v[14:15]
	v_add_f64 v[8:9], v[14:15], v[8:9]
	v_add_f64 v[14:15], v[10:11], v[8:9]
	v_add_f64 v[10:11], v[14:15], -v[10:11]
	v_add_f64 v[8:9], v[8:9], -v[10:11]
	v_mul_f64 v[10:11], v[14:15], v[14:15]
	v_mov_b32_e32 v16, 0x6b47b09a
	v_mov_b32_e32 v17, 0x3fc38538
	v_fmac_f64_e32 v[16:17], s[2:3], v[10:11]
	v_mov_b32_e32 v18, 0xd7f4df2e
	v_mov_b32_e32 v19, 0x3fc7474d
	v_fmac_f64_e32 v[18:19], v[10:11], v[16:17]
	;; [unrolled: 3-line block ×5, first 2 shown]
	v_mov_b32_e32 v18, 0x55555780
	v_mov_b32_e32 v19, 0x3fe55555
	s_mov_b32 s2, 0xfefa39ef
	v_fmac_f64_e32 v[18:19], v[10:11], v[16:17]
	v_cvt_f64_i32_e32 v[16:17], v30
	s_mov_b32 s3, 0x3fe62e42
	v_mul_f64 v[20:21], v[16:17], s[2:3]
	v_fma_f64 v[22:23], v[16:17], s[2:3], -v[20:21]
	s_mov_b32 s2, 0x3b39803f
	s_mov_b32 s3, 0x3c7abc9e
	v_fmac_f64_e32 v[22:23], s[2:3], v[16:17]
	v_add_f64 v[16:17], v[20:21], v[22:23]
	v_add_f64 v[20:21], v[16:17], -v[20:21]
	v_mul_f64 v[10:11], v[14:15], v[10:11]
	v_add_f64 v[20:21], v[22:23], -v[20:21]
	v_ldexp_f64 v[22:23], v[14:15], 1
	v_mul_f64 v[10:11], v[10:11], v[18:19]
	v_add_f64 v[14:15], v[22:23], v[10:11]
	v_add_f64 v[18:19], v[14:15], -v[22:23]
	v_ldexp_f64 v[8:9], v[8:9], 1
	v_add_f64 v[10:11], v[10:11], -v[18:19]
	v_add_f64 v[8:9], v[8:9], v[10:11]
	v_add_f64 v[10:11], v[14:15], v[8:9]
	v_add_f64 v[14:15], v[10:11], -v[14:15]
	v_add_f64 v[8:9], v[8:9], -v[14:15]
	v_add_f64 v[14:15], v[16:17], v[10:11]
	v_add_f64 v[18:19], v[14:15], -v[16:17]
	v_add_f64 v[22:23], v[14:15], -v[18:19]
	;; [unrolled: 1-line block ×4, first 2 shown]
	v_add_f64 v[10:11], v[10:11], v[16:17]
	v_add_f64 v[16:17], v[20:21], v[8:9]
	v_add_f64 v[18:19], v[16:17], -v[20:21]
	v_add_f64 v[10:11], v[16:17], v[10:11]
	v_add_f64 v[22:23], v[16:17], -v[18:19]
	;; [unrolled: 2-line block ×3, first 2 shown]
	v_add_f64 v[8:9], v[8:9], -v[18:19]
	v_add_f64 v[14:15], v[16:17], -v[14:15]
	v_add_f64 v[8:9], v[8:9], v[20:21]
	v_add_f64 v[10:11], v[10:11], -v[14:15]
	v_add_f64 v[8:9], v[8:9], v[10:11]
	s_mov_b32 s2, 0
	v_add_f64 v[8:9], v[16:17], v[8:9]
	s_mov_b32 s3, 0x7ff00000
	v_mul_f64 v[8:9], v[8:9], 0.5
	v_mov_b32_e32 v10, 0x7ff00000
	v_cmp_neq_f64_e32 vcc, s[2:3], v[12:13]
	v_cmp_ngt_f64_e64 s[2:3], -1.0, v[12:13]
	v_max_f64 v[14:15], |v[0:1]|, |v[0:1]|
	v_cndmask_b32_e32 v9, v10, v9, vcc
	v_mov_b32_e32 v10, 0x7ff80000
	v_cndmask_b32_e64 v9, v10, v9, s[2:3]
	v_max_f64 v[10:11], |v[2:3]|, |v[2:3]|
	v_cmp_nge_f64_e64 s[2:3], -1.0, v[12:13]
	v_max_f64 v[16:17], v[14:15], v[10:11]
	v_min_f64 v[10:11], v[14:15], v[10:11]
	s_and_b64 vcc, s[2:3], vcc
	v_div_scale_f64 v[14:15], s[2:3], v[16:17], v[16:17], v[10:11]
	v_rcp_f64_e32 v[18:19], v[14:15]
	v_cndmask_b32_e32 v8, 0, v8, vcc
	v_cmp_neq_f64_e32 vcc, -1.0, v[12:13]
	v_mov_b32_e32 v20, 0xfff00000
	v_fma_f64 v[12:13], -v[14:15], v[18:19], 1.0
	v_fmac_f64_e32 v[18:19], v[18:19], v[12:13]
	v_fma_f64 v[12:13], -v[14:15], v[18:19], 1.0
	v_cndmask_b32_e32 v9, v20, v9, vcc
	v_fmac_f64_e32 v[18:19], v[18:19], v[12:13]
	v_div_scale_f64 v[12:13], vcc, v[10:11], v[16:17], v[10:11]
	v_mul_f64 v[20:21], v[12:13], v[18:19]
	v_fma_f64 v[12:13], -v[14:15], v[20:21], v[12:13]
	s_mov_b32 s2, 0xb5e68a13
	s_nop 0
	v_div_fmas_f64 v[12:13], v[12:13], v[18:19], v[20:21]
	v_div_fixup_f64 v[10:11], v[12:13], v[16:17], v[10:11]
	v_mul_f64 v[12:13], v[10:11], v[10:11]
	v_mov_b32_e32 v14, 0xbd3237f4
	v_mov_b32_e32 v15, 0xbf23e260
	s_mov_b32 s3, 0x3eeba404
	v_fmac_f64_e32 v[14:15], s[2:3], v[12:13]
	v_mov_b32_e32 v16, 0x69efb384
	v_mov_b32_e32 v17, 0x3f4b2bb0
	v_fmac_f64_e32 v[16:17], v[12:13], v[14:15]
	v_mov_b32_e32 v14, 0xaf56de9b
	v_mov_b32_e32 v15, 0xbf67952d
	;; [unrolled: 3-line block ×18, first 2 shown]
	v_fmac_f64_e32 v[14:15], v[12:13], v[16:17]
	v_mul_f64 v[12:13], v[12:13], v[14:15]
	s_movk_i32 s14, 0x204
	v_fmac_f64_e32 v[10:11], v[10:11], v[12:13]
	v_cmp_class_f64_e64 s[2:3], v[2:3], s14
	v_cmp_class_f64_e64 s[14:15], v[0:1], s14
	v_mov_b32_e32 v0, 0x54442d18
	v_mov_b32_e32 v12, 0x7f3321d2
	v_cmp_gt_i32_e32 vcc, 0, v1
	v_mov_b32_e32 v13, 0x4002d97c
	s_brev_b32 s17, -2
	v_cndmask_b32_e32 v12, v0, v12, vcc
	v_mov_b32_e32 v0, 0x3fe921fb
	v_cndmask_b32_e32 v0, v0, v13, vcc
	s_mov_b32 s16, 0x54442d18
	v_bfi_b32 v13, s17, v0, v3
	v_ashrrev_i32_e32 v0, 31, v1
	s_mov_b32 s17, 0x3ff921fb
	s_mov_b32 s18, 0x400921fb
	v_and_b32_e32 v14, 0x400921fb, v0
	v_and_b32_e32 v15, 0x54442d18, v0
	v_add_f64 v[0:1], -v[10:11], s[16:17]
	v_cndmask_b32_e64 v1, v11, v1, s[0:1]
	v_cndmask_b32_e64 v0, v10, v0, s[0:1]
	s_mov_b32 s17, s18
	v_add_f64 v[10:11], -v[0:1], s[16:17]
	v_cndmask_b32_e32 v1, v1, v11, vcc
	v_cndmask_b32_e32 v0, v0, v10, vcc
	v_cmp_eq_f64_e32 vcc, 0, v[2:3]
                                        ; implicit-def: $vgpr10_vgpr11
                                        ; implicit-def: $vgpr16_vgpr17
	s_nop 1
	v_cndmask_b32_e32 v0, v0, v15, vcc
	v_cndmask_b32_e32 v1, v1, v14, vcc
	s_and_b64 vcc, s[14:15], s[2:3]
	v_cndmask_b32_e32 v13, v1, v13, vcc
	v_cndmask_b32_e32 v12, v0, v12, vcc
                                        ; implicit-def: $vgpr0_vgpr1
.LBB36_6:
	s_andn2_saveexec_b64 s[12:13], s[12:13]
	s_cbranch_execz .LBB36_14
; %bb.7:
	v_mul_f64 v[14:15], v[10:11], v[10:11]
	s_mov_b32 s2, 0x66666666
	v_fmac_f64_e32 v[14:15], v[16:17], v[16:17]
	s_mov_b32 s3, 0x3fe66666
	v_cmp_ge_f64_e32 vcc, s[2:3], v[14:15]
                                        ; implicit-def: $vgpr8_vgpr9
                                        ; implicit-def: $vgpr12_vgpr13
	s_and_saveexec_b64 s[2:3], vcc
	s_xor_b64 s[2:3], exec, s[2:3]
	s_cbranch_execz .LBB36_9
; %bb.8:
	s_mov_b32 s14, 0x55555555
	v_frexp_mant_f64_e32 v[8:9], v[14:15]
	s_mov_b32 s15, 0x3fe55555
	v_cmp_gt_f64_e32 vcc, s[14:15], v[8:9]
	v_frexp_exp_i32_f64_e32 v10, v[14:15]
	s_mov_b32 s14, 0xbf559e2b
	v_cndmask_b32_e64 v11, 0, 1, vcc
	v_ldexp_f64 v[8:9], v[8:9], v11
	v_subbrev_co_u32_e32 v24, vcc, 0, v10, vcc
	v_add_f64 v[10:11], v[8:9], 1.0
	v_rcp_f64_e32 v[12:13], v[10:11]
	v_add_f64 v[18:19], v[10:11], -1.0
	v_add_f64 v[16:17], v[8:9], -1.0
	v_add_f64 v[8:9], v[8:9], -v[18:19]
	v_fma_f64 v[18:19], -v[10:11], v[12:13], 1.0
	v_fmac_f64_e32 v[12:13], v[18:19], v[12:13]
	v_fma_f64 v[18:19], -v[10:11], v[12:13], 1.0
	v_fmac_f64_e32 v[12:13], v[18:19], v[12:13]
	v_mul_f64 v[18:19], v[16:17], v[12:13]
	v_mul_f64 v[20:21], v[10:11], v[18:19]
	v_fma_f64 v[10:11], v[18:19], v[10:11], -v[20:21]
	v_fmac_f64_e32 v[10:11], v[18:19], v[8:9]
	v_add_f64 v[8:9], v[20:21], v[10:11]
	v_add_f64 v[22:23], v[16:17], -v[8:9]
	v_add_f64 v[20:21], v[8:9], -v[20:21]
	;; [unrolled: 1-line block ×5, first 2 shown]
	v_add_f64 v[8:9], v[10:11], v[8:9]
	v_add_f64 v[8:9], v[22:23], v[8:9]
	v_mul_f64 v[8:9], v[12:13], v[8:9]
	v_add_f64 v[10:11], v[18:19], v[8:9]
	v_add_f64 v[12:13], v[10:11], -v[18:19]
	v_add_f64 v[8:9], v[8:9], -v[12:13]
	v_mul_f64 v[12:13], v[10:11], v[10:11]
	v_mov_b32_e32 v16, 0x6b47b09a
	v_mov_b32_e32 v17, 0x3fc38538
	s_mov_b32 s15, 0x3fc3ab76
	v_fmac_f64_e32 v[16:17], s[14:15], v[12:13]
	v_mov_b32_e32 v18, 0xd7f4df2e
	v_mov_b32_e32 v19, 0x3fc7474d
	v_fmac_f64_e32 v[18:19], v[12:13], v[16:17]
	v_mov_b32_e32 v16, 0x16291751
	v_mov_b32_e32 v17, 0x3fcc71c0
	v_fmac_f64_e32 v[16:17], v[12:13], v[18:19]
	v_mov_b32_e32 v18, 0x9b27acf1
	v_mov_b32_e32 v19, 0x3fd24924
	v_fmac_f64_e32 v[18:19], v[12:13], v[16:17]
	v_mov_b32_e32 v16, 0x998ef7b6
	v_mov_b32_e32 v17, 0x3fd99999
	v_fmac_f64_e32 v[16:17], v[12:13], v[18:19]
	v_mov_b32_e32 v18, 0x55555780
	v_mov_b32_e32 v19, 0x3fe55555
	v_fmac_f64_e32 v[18:19], v[12:13], v[16:17]
	v_ldexp_f64 v[16:17], v[10:11], 1
	v_mul_f64 v[10:11], v[10:11], v[12:13]
	v_mul_f64 v[10:11], v[10:11], v[18:19]
	v_add_f64 v[12:13], v[16:17], v[10:11]
	v_add_f64 v[16:17], v[12:13], -v[16:17]
	v_ldexp_f64 v[8:9], v[8:9], 1
	v_add_f64 v[10:11], v[10:11], -v[16:17]
	v_add_f64 v[8:9], v[8:9], v[10:11]
	v_add_f64 v[10:11], v[12:13], v[8:9]
	v_add_f64 v[12:13], v[10:11], -v[12:13]
	s_mov_b32 s14, 0xfefa39ef
	v_add_f64 v[8:9], v[8:9], -v[12:13]
	v_cvt_f64_i32_e32 v[12:13], v24
	s_mov_b32 s15, 0x3fe62e42
	v_mul_f64 v[16:17], v[12:13], s[14:15]
	v_fma_f64 v[18:19], v[12:13], s[14:15], -v[16:17]
	s_mov_b32 s14, 0x3b39803f
	s_mov_b32 s15, 0x3c7abc9e
	v_fmac_f64_e32 v[18:19], s[14:15], v[12:13]
	v_add_f64 v[12:13], v[16:17], v[18:19]
	v_add_f64 v[16:17], v[12:13], -v[16:17]
	v_add_f64 v[16:17], v[18:19], -v[16:17]
	v_add_f64 v[18:19], v[12:13], v[10:11]
	v_add_f64 v[20:21], v[18:19], -v[12:13]
	v_add_f64 v[22:23], v[18:19], -v[20:21]
	;; [unrolled: 1-line block ×4, first 2 shown]
	v_add_f64 v[10:11], v[10:11], v[12:13]
	v_add_f64 v[12:13], v[16:17], v[8:9]
	v_add_f64 v[20:21], v[12:13], -v[16:17]
	v_add_f64 v[22:23], v[12:13], -v[20:21]
	v_add_f64 v[10:11], v[12:13], v[10:11]
	v_add_f64 v[16:17], v[16:17], -v[22:23]
	v_add_f64 v[8:9], v[8:9], -v[20:21]
	v_add_f64 v[12:13], v[18:19], v[10:11]
	v_add_f64 v[8:9], v[8:9], v[16:17]
	v_add_f64 v[16:17], v[12:13], -v[18:19]
	v_add_f64 v[10:11], v[10:11], -v[16:17]
	v_add_f64 v[8:9], v[8:9], v[10:11]
	v_add_f64 v[8:9], v[12:13], v[8:9]
	v_max_f64 v[10:11], |v[2:3]|, |v[2:3]|
	v_max_f64 v[12:13], |v[0:1]|, |v[0:1]|
	v_max_f64 v[16:17], v[12:13], v[10:11]
	v_min_f64 v[10:11], v[12:13], v[10:11]
	v_div_scale_f64 v[12:13], s[14:15], v[16:17], v[16:17], v[10:11]
	v_rcp_f64_e32 v[18:19], v[12:13]
	v_cmp_neq_f64_e32 vcc, 0, v[14:15]
	v_mul_f64 v[8:9], v[8:9], 0.5
	v_mov_b32_e32 v20, 0xfff00000
	v_fma_f64 v[14:15], -v[12:13], v[18:19], 1.0
	v_fmac_f64_e32 v[18:19], v[18:19], v[14:15]
	v_fma_f64 v[14:15], -v[12:13], v[18:19], 1.0
	v_cndmask_b32_e32 v9, v20, v9, vcc
	v_cndmask_b32_e32 v8, 0, v8, vcc
	v_fmac_f64_e32 v[18:19], v[18:19], v[14:15]
	v_div_scale_f64 v[14:15], vcc, v[10:11], v[16:17], v[10:11]
	v_mul_f64 v[20:21], v[14:15], v[18:19]
	v_fma_f64 v[12:13], -v[12:13], v[20:21], v[14:15]
	s_mov_b32 s14, 0xb5e68a13
	s_nop 0
	v_div_fmas_f64 v[12:13], v[12:13], v[18:19], v[20:21]
	v_div_fixup_f64 v[10:11], v[12:13], v[16:17], v[10:11]
	v_mul_f64 v[12:13], v[10:11], v[10:11]
	v_mov_b32_e32 v14, 0xbd3237f4
	v_mov_b32_e32 v15, 0xbf23e260
	s_mov_b32 s15, 0x3eeba404
	v_fmac_f64_e32 v[14:15], s[14:15], v[12:13]
	v_mov_b32_e32 v16, 0x69efb384
	v_mov_b32_e32 v17, 0x3f4b2bb0
	v_fmac_f64_e32 v[16:17], v[12:13], v[14:15]
	v_mov_b32_e32 v14, 0xaf56de9b
	v_mov_b32_e32 v15, 0xbf67952d
	;; [unrolled: 3-line block ×18, first 2 shown]
	v_fmac_f64_e32 v[14:15], v[12:13], v[16:17]
	v_mul_f64 v[12:13], v[12:13], v[14:15]
	s_movk_i32 s16, 0x204
	v_fmac_f64_e32 v[10:11], v[10:11], v[12:13]
	v_cmp_class_f64_e64 s[14:15], v[2:3], s16
	v_cmp_class_f64_e64 s[16:17], v[0:1], s16
	v_mov_b32_e32 v0, 0x54442d18
	v_mov_b32_e32 v12, 0x7f3321d2
	v_cmp_gt_i32_e32 vcc, 0, v1
	v_mov_b32_e32 v13, 0x4002d97c
	s_brev_b32 s19, -2
	v_cndmask_b32_e32 v12, v0, v12, vcc
	v_mov_b32_e32 v0, 0x3fe921fb
	v_cndmask_b32_e32 v0, v0, v13, vcc
	s_mov_b32 s18, 0x54442d18
	v_bfi_b32 v13, s19, v0, v3
	v_ashrrev_i32_e32 v0, 31, v1
	s_mov_b32 s19, 0x3ff921fb
	s_mov_b32 s20, 0x400921fb
	v_and_b32_e32 v14, 0x400921fb, v0
	v_and_b32_e32 v15, 0x54442d18, v0
	v_add_f64 v[0:1], -v[10:11], s[18:19]
	v_cndmask_b32_e64 v1, v11, v1, s[0:1]
	v_cndmask_b32_e64 v0, v10, v0, s[0:1]
	s_mov_b32 s19, s20
	v_add_f64 v[10:11], -v[0:1], s[18:19]
	v_cndmask_b32_e32 v1, v1, v11, vcc
	v_cndmask_b32_e32 v0, v0, v10, vcc
	v_cmp_eq_f64_e32 vcc, 0, v[2:3]
                                        ; implicit-def: $vgpr16_vgpr17
                                        ; implicit-def: $vgpr10_vgpr11
	s_nop 1
	v_cndmask_b32_e32 v0, v0, v15, vcc
	v_cndmask_b32_e32 v1, v1, v14, vcc
	s_and_b64 vcc, s[16:17], s[14:15]
	v_cndmask_b32_e32 v13, v1, v13, vcc
	v_cndmask_b32_e32 v12, v0, v12, vcc
                                        ; implicit-def: $vgpr0_vgpr1
.LBB36_9:
	s_andn2_saveexec_b64 s[14:15], s[2:3]
	s_cbranch_execz .LBB36_13
; %bb.10:
	v_and_b32_e32 v13, 0x7ffffff8, v17
	v_mov_b32_e32 v12, 0
	v_add_f64 v[8:9], v[16:17], -v[12:13]
	v_and_b32_e32 v25, -8, v9
	v_mov_b32_e32 v24, v12
	v_and_b32_e32 v15, 0x7ffffff8, v11
	v_mov_b32_e32 v14, v12
	v_add_f64 v[28:29], v[8:9], -v[24:25]
	v_add_f64 v[8:9], v[10:11], -v[14:15]
	v_and_b32_e32 v27, -8, v9
	v_mov_b32_e32 v26, v12
	v_add_f64 v[18:19], v[12:13], v[12:13]
	v_add_f64 v[32:33], v[14:15], v[14:15]
	v_add_f64 v[30:31], v[8:9], -v[26:27]
	v_mul_f64 v[8:9], v[12:13], v[12:13]
	v_mul_f64 v[10:11], v[14:15], v[14:15]
	;; [unrolled: 1-line block ×6, first 2 shown]
	v_add_f64 v[24:25], v[24:25], v[24:25]
	v_add_f64 v[26:27], v[26:27], v[26:27]
	v_mul_f64 v[20:21], v[18:19], v[28:29]
	v_mul_f64 v[18:19], v[32:33], v[30:31]
	;; [unrolled: 1-line block ×6, first 2 shown]
	s_mov_b64 s[16:17], 0
.LBB36_11:                              ; =>This Inner Loop Header: Depth=1
	v_cmp_nlt_f64_e32 vcc, v[8:9], v[10:11]
	s_nop 1
	v_cndmask_b32_e32 v33, v9, v11, vcc
	v_cndmask_b32_e32 v32, v8, v10, vcc
	v_cmp_nlt_f64_e64 s[2:3], v[32:33], v[16:17]
	v_cndmask_b32_e32 v9, v11, v9, vcc
	v_cndmask_b32_e32 v8, v10, v8, vcc
	v_cndmask_b32_e64 v35, v33, v17, s[2:3]
	v_cndmask_b32_e64 v34, v32, v16, s[2:3]
	s_and_b64 s[18:19], vcc, s[2:3]
	v_cmp_nlt_f64_e32 vcc, v[34:35], v[14:15]
	v_cndmask_b32_e64 v11, v17, v33, s[2:3]
	v_cndmask_b32_e64 v10, v16, v32, s[2:3]
	v_cndmask_b32_e32 v33, v35, v15, vcc
	v_cndmask_b32_e32 v32, v34, v14, vcc
	v_cmp_nlt_f64_e64 s[2:3], v[32:33], v[22:23]
	v_cndmask_b32_e32 v17, v15, v35, vcc
	v_cndmask_b32_e32 v16, v14, v34, vcc
	v_cndmask_b32_e64 v35, v33, v23, s[2:3]
	v_cndmask_b32_e64 v34, v32, v22, s[2:3]
	s_and_b64 s[20:21], vcc, s[2:3]
	v_cmp_nlt_f64_e32 vcc, v[34:35], v[12:13]
	v_cndmask_b32_e64 v15, v23, v33, s[2:3]
	v_cndmask_b32_e64 v14, v22, v32, s[2:3]
	v_cndmask_b32_e32 v33, v35, v13, vcc
	v_cndmask_b32_e32 v32, v34, v12, vcc
	v_cmp_nlt_f64_e64 s[2:3], v[32:33], v[20:21]
	v_cndmask_b32_e32 v23, v13, v35, vcc
	v_cndmask_b32_e32 v22, v12, v34, vcc
	v_cndmask_b32_e64 v35, v33, v21, s[2:3]
	v_cndmask_b32_e64 v34, v32, v20, s[2:3]
	;; [unrolled: 1-line block ×4, first 2 shown]
	s_and_b64 s[2:3], vcc, s[2:3]
	v_cmp_nlt_f64_e32 vcc, v[34:35], v[18:19]
	s_and_b64 s[2:3], s[2:3], vcc
	s_nop 0
	v_cndmask_b32_e32 v33, v35, v19, vcc
	v_cndmask_b32_e32 v32, v34, v18, vcc
	v_cndmask_b32_e32 v21, v19, v35, vcc
	v_cndmask_b32_e32 v20, v18, v34, vcc
	v_cmp_nlt_f64_e32 vcc, v[32:33], v[24:25]
	s_and_b64 s[2:3], s[2:3], vcc
	s_nop 0
	v_cndmask_b32_e32 v35, v33, v25, vcc
	v_cndmask_b32_e32 v34, v32, v24, vcc
	v_cndmask_b32_e32 v19, v25, v33, vcc
	v_cndmask_b32_e32 v18, v24, v32, vcc
	;; [unrolled: 7-line block ×4, first 2 shown]
	v_cmp_nlt_f64_e32 vcc, v[34:35], v[30:31]
	s_and_b64 s[2:3], s[2:3], vcc
	s_and_b64 s[2:3], s[2:3], s[20:21]
	s_and_b64 s[2:3], s[2:3], s[18:19]
	v_cndmask_b32_e32 v33, v35, v31, vcc
	v_cndmask_b32_e32 v32, v34, v30, vcc
	s_and_b64 s[2:3], exec, s[2:3]
	v_cndmask_b32_e32 v29, v31, v35, vcc
	v_cndmask_b32_e32 v28, v30, v34, vcc
	s_or_b64 s[16:17], s[2:3], s[16:17]
	v_mov_b64_e32 v[30:31], v[32:33]
	s_andn2_b64 exec, exec, s[16:17]
	s_cbranch_execnz .LBB36_11
; %bb.12:
	s_or_b64 exec, exec, s[16:17]
	v_add_f64 v[8:9], v[8:9], -1.0
	v_add_f64 v[8:9], v[8:9], v[10:11]
	v_add_f64 v[8:9], v[8:9], v[16:17]
	;; [unrolled: 1-line block ×11, first 2 shown]
	v_add_f64 v[8:9], v[10:11], 1.0
	v_add_f64 v[12:13], v[8:9], -1.0
	v_add_f64 v[14:15], v[12:13], -v[8:9]
	v_add_f64 v[14:15], v[14:15], 1.0
	v_add_f64 v[12:13], v[10:11], -v[12:13]
	s_mov_b32 s2, 0x55555555
	v_add_f64 v[12:13], v[12:13], v[14:15]
	v_frexp_mant_f64_e32 v[14:15], v[8:9]
	s_mov_b32 s3, 0x3fe55555
	v_frexp_exp_i32_f64_e32 v16, v[8:9]
	v_cmp_gt_f64_e32 vcc, s[2:3], v[14:15]
	s_mov_b32 s2, 0xbf559e2b
	s_mov_b32 s3, 0x3fc3ab76
	v_subbrev_co_u32_e32 v30, vcc, 0, v16, vcc
	v_sub_u32_e32 v14, 0, v30
	v_ldexp_f64 v[8:9], v[8:9], v14
	v_ldexp_f64 v[12:13], v[12:13], v14
	v_add_f64 v[14:15], v[8:9], -1.0
	v_add_f64 v[20:21], v[8:9], 1.0
	v_add_f64 v[16:17], v[14:15], 1.0
	v_add_f64 v[22:23], v[20:21], -1.0
	v_add_f64 v[16:17], v[8:9], -v[16:17]
	v_add_f64 v[8:9], v[8:9], -v[22:23]
	v_add_f64 v[8:9], v[12:13], v[8:9]
	v_add_f64 v[16:17], v[12:13], v[16:17]
	;; [unrolled: 1-line block ×3, first 2 shown]
	v_rcp_f64_e32 v[22:23], v[12:13]
	v_add_f64 v[18:19], v[14:15], v[16:17]
	v_add_f64 v[14:15], v[18:19], -v[14:15]
	v_add_f64 v[14:15], v[16:17], -v[14:15]
	;; [unrolled: 1-line block ×4, first 2 shown]
	v_fma_f64 v[16:17], -v[12:13], v[22:23], 1.0
	v_fmac_f64_e32 v[22:23], v[16:17], v[22:23]
	v_fma_f64 v[16:17], -v[12:13], v[22:23], 1.0
	v_fmac_f64_e32 v[22:23], v[16:17], v[22:23]
	v_mul_f64 v[16:17], v[18:19], v[22:23]
	v_mul_f64 v[20:21], v[12:13], v[16:17]
	v_fma_f64 v[24:25], v[16:17], v[12:13], -v[20:21]
	v_fmac_f64_e32 v[24:25], v[16:17], v[8:9]
	v_add_f64 v[26:27], v[20:21], v[24:25]
	v_add_f64 v[28:29], v[18:19], -v[26:27]
	v_add_f64 v[18:19], v[18:19], -v[28:29]
	;; [unrolled: 1-line block ×4, first 2 shown]
	v_add_f64 v[14:15], v[14:15], v[18:19]
	v_add_f64 v[18:19], v[20:21], -v[24:25]
	v_add_f64 v[14:15], v[18:19], v[14:15]
	v_add_f64 v[18:19], v[28:29], v[14:15]
	v_add_f64 v[20:21], v[28:29], -v[18:19]
	v_add_f64 v[14:15], v[14:15], v[20:21]
	v_mul_f64 v[20:21], v[22:23], v[18:19]
	v_mul_f64 v[24:25], v[12:13], v[20:21]
	v_fma_f64 v[12:13], v[20:21], v[12:13], -v[24:25]
	v_fmac_f64_e32 v[12:13], v[20:21], v[8:9]
	v_add_f64 v[8:9], v[24:25], v[12:13]
	v_add_f64 v[26:27], v[18:19], -v[8:9]
	v_add_f64 v[18:19], v[18:19], -v[26:27]
	;; [unrolled: 1-line block ×4, first 2 shown]
	v_add_f64 v[8:9], v[14:15], v[8:9]
	v_add_f64 v[12:13], v[24:25], -v[12:13]
	v_add_f64 v[8:9], v[12:13], v[8:9]
	v_add_f64 v[12:13], v[16:17], v[20:21]
	;; [unrolled: 1-line block ×3, first 2 shown]
	v_add_f64 v[14:15], v[12:13], -v[16:17]
	v_mul_f64 v[8:9], v[22:23], v[8:9]
	v_add_f64 v[14:15], v[20:21], -v[14:15]
	v_add_f64 v[8:9], v[14:15], v[8:9]
	v_add_f64 v[14:15], v[12:13], v[8:9]
	v_add_f64 v[12:13], v[14:15], -v[12:13]
	v_add_f64 v[8:9], v[8:9], -v[12:13]
	v_mul_f64 v[12:13], v[14:15], v[14:15]
	v_mov_b32_e32 v16, 0x6b47b09a
	v_mov_b32_e32 v17, 0x3fc38538
	v_fmac_f64_e32 v[16:17], s[2:3], v[12:13]
	v_mov_b32_e32 v18, 0xd7f4df2e
	v_mov_b32_e32 v19, 0x3fc7474d
	v_fmac_f64_e32 v[18:19], v[12:13], v[16:17]
	;; [unrolled: 3-line block ×5, first 2 shown]
	v_mov_b32_e32 v18, 0x55555780
	v_mov_b32_e32 v19, 0x3fe55555
	s_mov_b32 s2, 0xfefa39ef
	v_fmac_f64_e32 v[18:19], v[12:13], v[16:17]
	v_cvt_f64_i32_e32 v[16:17], v30
	s_mov_b32 s3, 0x3fe62e42
	v_mul_f64 v[20:21], v[16:17], s[2:3]
	v_fma_f64 v[22:23], v[16:17], s[2:3], -v[20:21]
	s_mov_b32 s2, 0x3b39803f
	s_mov_b32 s3, 0x3c7abc9e
	v_fmac_f64_e32 v[22:23], s[2:3], v[16:17]
	v_add_f64 v[16:17], v[20:21], v[22:23]
	v_add_f64 v[20:21], v[16:17], -v[20:21]
	v_mul_f64 v[12:13], v[14:15], v[12:13]
	v_add_f64 v[20:21], v[22:23], -v[20:21]
	v_ldexp_f64 v[22:23], v[14:15], 1
	v_mul_f64 v[12:13], v[12:13], v[18:19]
	v_add_f64 v[14:15], v[22:23], v[12:13]
	v_add_f64 v[18:19], v[14:15], -v[22:23]
	v_ldexp_f64 v[8:9], v[8:9], 1
	v_add_f64 v[12:13], v[12:13], -v[18:19]
	v_add_f64 v[8:9], v[8:9], v[12:13]
	v_add_f64 v[12:13], v[14:15], v[8:9]
	v_add_f64 v[14:15], v[12:13], -v[14:15]
	v_add_f64 v[8:9], v[8:9], -v[14:15]
	v_add_f64 v[14:15], v[16:17], v[12:13]
	v_add_f64 v[18:19], v[14:15], -v[16:17]
	v_add_f64 v[22:23], v[14:15], -v[18:19]
	;; [unrolled: 1-line block ×4, first 2 shown]
	v_add_f64 v[12:13], v[12:13], v[16:17]
	v_add_f64 v[16:17], v[20:21], v[8:9]
	v_add_f64 v[18:19], v[16:17], -v[20:21]
	v_add_f64 v[12:13], v[16:17], v[12:13]
	v_add_f64 v[22:23], v[16:17], -v[18:19]
	;; [unrolled: 2-line block ×3, first 2 shown]
	v_add_f64 v[8:9], v[8:9], -v[18:19]
	v_add_f64 v[14:15], v[16:17], -v[14:15]
	v_add_f64 v[8:9], v[8:9], v[20:21]
	v_add_f64 v[12:13], v[12:13], -v[14:15]
	v_add_f64 v[8:9], v[8:9], v[12:13]
	s_mov_b32 s2, 0
	v_add_f64 v[8:9], v[16:17], v[8:9]
	s_mov_b32 s3, 0x7ff00000
	v_mul_f64 v[8:9], v[8:9], 0.5
	v_mov_b32_e32 v12, 0x7ff00000
	v_cmp_neq_f64_e32 vcc, s[2:3], v[10:11]
	v_cmp_ngt_f64_e64 s[2:3], -1.0, v[10:11]
	v_max_f64 v[14:15], |v[0:1]|, |v[0:1]|
	v_cndmask_b32_e32 v9, v12, v9, vcc
	v_mov_b32_e32 v12, 0x7ff80000
	v_cndmask_b32_e64 v9, v12, v9, s[2:3]
	v_max_f64 v[12:13], |v[2:3]|, |v[2:3]|
	v_cmp_nge_f64_e64 s[2:3], -1.0, v[10:11]
	v_max_f64 v[16:17], v[14:15], v[12:13]
	v_min_f64 v[12:13], v[14:15], v[12:13]
	s_and_b64 vcc, s[2:3], vcc
	v_div_scale_f64 v[14:15], s[2:3], v[16:17], v[16:17], v[12:13]
	v_rcp_f64_e32 v[18:19], v[14:15]
	v_cndmask_b32_e32 v8, 0, v8, vcc
	v_cmp_neq_f64_e32 vcc, -1.0, v[10:11]
	v_mov_b32_e32 v20, 0xfff00000
	v_fma_f64 v[10:11], -v[14:15], v[18:19], 1.0
	v_fmac_f64_e32 v[18:19], v[18:19], v[10:11]
	v_fma_f64 v[10:11], -v[14:15], v[18:19], 1.0
	v_cndmask_b32_e32 v9, v20, v9, vcc
	v_fmac_f64_e32 v[18:19], v[18:19], v[10:11]
	v_div_scale_f64 v[10:11], vcc, v[12:13], v[16:17], v[12:13]
	v_mul_f64 v[20:21], v[10:11], v[18:19]
	v_fma_f64 v[10:11], -v[14:15], v[20:21], v[10:11]
	s_mov_b32 s2, 0xb5e68a13
	s_nop 0
	v_div_fmas_f64 v[10:11], v[10:11], v[18:19], v[20:21]
	v_div_fixup_f64 v[10:11], v[10:11], v[16:17], v[12:13]
	v_mul_f64 v[12:13], v[10:11], v[10:11]
	v_mov_b32_e32 v14, 0xbd3237f4
	v_mov_b32_e32 v15, 0xbf23e260
	s_mov_b32 s3, 0x3eeba404
	v_fmac_f64_e32 v[14:15], s[2:3], v[12:13]
	v_mov_b32_e32 v16, 0x69efb384
	v_mov_b32_e32 v17, 0x3f4b2bb0
	v_fmac_f64_e32 v[16:17], v[12:13], v[14:15]
	v_mov_b32_e32 v14, 0xaf56de9b
	v_mov_b32_e32 v15, 0xbf67952d
	;; [unrolled: 3-line block ×18, first 2 shown]
	v_fmac_f64_e32 v[14:15], v[12:13], v[16:17]
	v_mul_f64 v[12:13], v[12:13], v[14:15]
	s_movk_i32 s16, 0x204
	v_fmac_f64_e32 v[10:11], v[10:11], v[12:13]
	v_cmp_class_f64_e64 s[2:3], v[2:3], s16
	v_cmp_class_f64_e64 s[16:17], v[0:1], s16
	v_mov_b32_e32 v0, 0x54442d18
	v_mov_b32_e32 v12, 0x7f3321d2
	v_cmp_gt_i32_e32 vcc, 0, v1
	v_mov_b32_e32 v13, 0x4002d97c
	s_brev_b32 s19, -2
	v_cndmask_b32_e32 v12, v0, v12, vcc
	v_mov_b32_e32 v0, 0x3fe921fb
	v_cndmask_b32_e32 v0, v0, v13, vcc
	s_mov_b32 s18, 0x54442d18
	v_bfi_b32 v13, s19, v0, v3
	v_ashrrev_i32_e32 v0, 31, v1
	s_mov_b32 s19, 0x3ff921fb
	s_mov_b32 s20, 0x400921fb
	v_and_b32_e32 v14, 0x400921fb, v0
	v_and_b32_e32 v15, 0x54442d18, v0
	v_add_f64 v[0:1], -v[10:11], s[18:19]
	v_cndmask_b32_e64 v1, v11, v1, s[0:1]
	v_cndmask_b32_e64 v0, v10, v0, s[0:1]
	s_mov_b32 s19, s20
	v_add_f64 v[10:11], -v[0:1], s[18:19]
	v_cndmask_b32_e32 v1, v1, v11, vcc
	v_cndmask_b32_e32 v0, v0, v10, vcc
	v_cmp_eq_f64_e32 vcc, 0, v[2:3]
	s_nop 1
	v_cndmask_b32_e32 v0, v0, v15, vcc
	v_cndmask_b32_e32 v1, v1, v14, vcc
	s_and_b64 vcc, s[16:17], s[2:3]
	v_cndmask_b32_e32 v13, v1, v13, vcc
	v_cndmask_b32_e32 v12, v0, v12, vcc
.LBB36_13:
	s_or_b64 exec, exec, s[14:15]
.LBB36_14:
	s_or_b64 exec, exec, s[12:13]
                                        ; implicit-def: $vgpr0_vgpr1
.LBB36_15:
	s_andn2_saveexec_b64 s[2:3], s[10:11]
	s_cbranch_execz .LBB36_17
; %bb.16:
	v_max_f64 v[10:11], |v[2:3]|, |v[2:3]|
	v_max_f64 v[12:13], |v[0:1]|, |v[0:1]|
	v_max_f64 v[14:15], v[12:13], v[10:11]
	v_frexp_exp_i32_f64_e32 v22, v[14:15]
	v_sub_u32_e32 v16, 0, v22
	v_ldexp_f64 v[8:9], |v[0:1]|, v16
	v_ldexp_f64 v[16:17], |v[2:3]|, v16
	v_mul_f64 v[16:17], v[16:17], v[16:17]
	v_fmac_f64_e32 v[16:17], v[8:9], v[8:9]
	v_rsq_f64_e32 v[8:9], v[16:17]
	v_cmp_eq_f64_e32 vcc, 0, v[16:17]
	s_movk_i32 s16, 0x204
	v_cmp_class_f64_e64 s[10:11], v[0:1], s16
	v_mul_f64 v[18:19], v[16:17], v[8:9]
	v_mul_f64 v[8:9], v[8:9], 0.5
	v_fma_f64 v[20:21], -v[8:9], v[18:19], 0.5
	v_fmac_f64_e32 v[18:19], v[18:19], v[20:21]
	v_fmac_f64_e32 v[8:9], v[8:9], v[20:21]
	v_fma_f64 v[20:21], -v[18:19], v[18:19], v[16:17]
	v_fmac_f64_e32 v[18:19], v[20:21], v[8:9]
	v_cndmask_b32_e32 v9, v19, v17, vcc
	v_cndmask_b32_e32 v8, v18, v16, vcc
	v_cmp_class_f64_e64 s[12:13], v[2:3], s16
	v_ldexp_f64 v[8:9], v[8:9], v22
	v_mov_b32_e32 v0, 0x7ff00000
	s_or_b64 vcc, s[10:11], s[12:13]
	v_cndmask_b32_e32 v17, v9, v0, vcc
	v_cndmask_b32_e64 v16, v8, 0, vcc
	s_mov_b32 s14, 0x55555555
	v_frexp_mant_f64_e32 v[8:9], v[16:17]
	s_mov_b32 s15, 0x3fe55555
	v_cmp_gt_f64_e32 vcc, s[14:15], v[8:9]
	s_mov_b32 s14, 0xbf559e2b
	s_mov_b32 s15, 0x3fc3ab76
	v_cndmask_b32_e64 v18, 0, 1, vcc
	v_ldexp_f64 v[8:9], v[8:9], v18
	v_add_f64 v[18:19], v[8:9], 1.0
	v_rcp_f64_e32 v[20:21], v[18:19]
	v_add_f64 v[24:25], v[18:19], -1.0
	v_add_f64 v[22:23], v[8:9], -1.0
	v_add_f64 v[8:9], v[8:9], -v[24:25]
	v_fma_f64 v[24:25], -v[18:19], v[20:21], 1.0
	v_fmac_f64_e32 v[20:21], v[24:25], v[20:21]
	v_fma_f64 v[24:25], -v[18:19], v[20:21], 1.0
	v_fmac_f64_e32 v[20:21], v[24:25], v[20:21]
	v_mul_f64 v[24:25], v[22:23], v[20:21]
	v_mul_f64 v[26:27], v[18:19], v[24:25]
	v_fma_f64 v[18:19], v[24:25], v[18:19], -v[26:27]
	v_fmac_f64_e32 v[18:19], v[24:25], v[8:9]
	v_add_f64 v[8:9], v[26:27], v[18:19]
	v_add_f64 v[28:29], v[22:23], -v[8:9]
	v_add_f64 v[26:27], v[8:9], -v[26:27]
	;; [unrolled: 1-line block ×5, first 2 shown]
	v_add_f64 v[8:9], v[18:19], v[8:9]
	v_add_f64 v[8:9], v[28:29], v[8:9]
	v_mul_f64 v[8:9], v[20:21], v[8:9]
	v_add_f64 v[18:19], v[24:25], v[8:9]
	v_add_f64 v[20:21], v[18:19], -v[24:25]
	v_add_f64 v[8:9], v[8:9], -v[20:21]
	v_mul_f64 v[20:21], v[18:19], v[18:19]
	v_mov_b32_e32 v22, 0x6b47b09a
	v_mov_b32_e32 v23, 0x3fc38538
	v_fmac_f64_e32 v[22:23], s[14:15], v[20:21]
	v_mov_b32_e32 v24, 0xd7f4df2e
	v_mov_b32_e32 v25, 0x3fc7474d
	v_fmac_f64_e32 v[24:25], v[20:21], v[22:23]
	;; [unrolled: 3-line block ×6, first 2 shown]
	v_ldexp_f64 v[22:23], v[18:19], 1
	v_mul_f64 v[18:19], v[18:19], v[20:21]
	v_mul_f64 v[18:19], v[18:19], v[24:25]
	v_add_f64 v[20:21], v[22:23], v[18:19]
	v_add_f64 v[22:23], v[20:21], -v[22:23]
	v_ldexp_f64 v[8:9], v[8:9], 1
	v_add_f64 v[18:19], v[18:19], -v[22:23]
	v_add_f64 v[8:9], v[8:9], v[18:19]
	v_frexp_exp_i32_f64_e32 v0, v[16:17]
	v_add_f64 v[18:19], v[20:21], v[8:9]
	v_subbrev_co_u32_e32 v0, vcc, 0, v0, vcc
	v_add_f64 v[20:21], v[18:19], -v[20:21]
	s_mov_b32 s14, 0xfefa39ef
	v_add_f64 v[8:9], v[8:9], -v[20:21]
	v_cvt_f64_i32_e32 v[20:21], v0
	s_mov_b32 s15, 0x3fe62e42
	v_mul_f64 v[22:23], v[20:21], s[14:15]
	v_fma_f64 v[24:25], v[20:21], s[14:15], -v[22:23]
	s_mov_b32 s14, 0x3b39803f
	s_mov_b32 s15, 0x3c7abc9e
	v_fmac_f64_e32 v[24:25], s[14:15], v[20:21]
	v_add_f64 v[20:21], v[22:23], v[24:25]
	v_add_f64 v[22:23], v[20:21], -v[22:23]
	v_add_f64 v[22:23], v[24:25], -v[22:23]
	v_add_f64 v[24:25], v[20:21], v[18:19]
	v_add_f64 v[26:27], v[24:25], -v[20:21]
	v_add_f64 v[28:29], v[24:25], -v[26:27]
	;; [unrolled: 1-line block ×4, first 2 shown]
	v_add_f64 v[18:19], v[18:19], v[20:21]
	v_add_f64 v[20:21], v[22:23], v[8:9]
	v_add_f64 v[26:27], v[20:21], -v[22:23]
	v_add_f64 v[28:29], v[20:21], -v[26:27]
	v_add_f64 v[18:19], v[20:21], v[18:19]
	v_add_f64 v[22:23], v[22:23], -v[28:29]
	v_add_f64 v[8:9], v[8:9], -v[26:27]
	v_add_f64 v[20:21], v[24:25], v[18:19]
	v_add_f64 v[8:9], v[8:9], v[22:23]
	v_add_f64 v[22:23], v[20:21], -v[24:25]
	v_min_f64 v[10:11], v[12:13], v[10:11]
	v_add_f64 v[18:19], v[18:19], -v[22:23]
	v_div_scale_f64 v[12:13], s[14:15], v[14:15], v[14:15], v[10:11]
	v_add_f64 v[8:9], v[8:9], v[18:19]
	v_rcp_f64_e32 v[18:19], v[12:13]
	v_add_f64 v[8:9], v[20:21], v[8:9]
	v_cmp_class_f64_e64 vcc, v[16:17], s16
	s_mov_b32 s14, 0xb5e68a13
	s_mov_b32 s15, 0x3eeba404
	v_cndmask_b32_e32 v0, v8, v16, vcc
	v_cndmask_b32_e32 v8, v9, v17, vcc
	v_mov_b32_e32 v9, 0x7ff80000
	v_cmp_ngt_f64_e32 vcc, 0, v[16:17]
	s_mov_b32 s16, 0x400921fb
	s_nop 0
	v_cndmask_b32_e32 v9, v9, v8, vcc
	v_cmp_nge_f64_e32 vcc, 0, v[16:17]
	s_nop 1
	v_cndmask_b32_e32 v8, 0, v0, vcc
	v_cmp_neq_f64_e32 vcc, 0, v[16:17]
	v_fma_f64 v[16:17], -v[12:13], v[18:19], 1.0
	v_fmac_f64_e32 v[18:19], v[18:19], v[16:17]
	v_mov_b32_e32 v0, 0xfff00000
	v_fma_f64 v[16:17], -v[12:13], v[18:19], 1.0
	v_cndmask_b32_e32 v9, v0, v9, vcc
	v_fmac_f64_e32 v[18:19], v[18:19], v[16:17]
	v_div_scale_f64 v[16:17], vcc, v[10:11], v[14:15], v[10:11]
	v_mul_f64 v[20:21], v[16:17], v[18:19]
	v_fma_f64 v[12:13], -v[12:13], v[20:21], v[16:17]
	v_mov_b32_e32 v16, 0x69efb384
	s_nop 0
	v_div_fmas_f64 v[12:13], v[12:13], v[18:19], v[20:21]
	v_div_fixup_f64 v[10:11], v[12:13], v[14:15], v[10:11]
	v_mul_f64 v[12:13], v[10:11], v[10:11]
	v_mov_b32_e32 v14, 0xbd3237f4
	v_mov_b32_e32 v15, 0xbf23e260
	v_fmac_f64_e32 v[14:15], s[14:15], v[12:13]
	v_mov_b32_e32 v17, 0x3f4b2bb0
	v_fmac_f64_e32 v[16:17], v[12:13], v[14:15]
	v_mov_b32_e32 v14, 0xaf56de9b
	v_mov_b32_e32 v15, 0xbf67952d
	v_fmac_f64_e32 v[14:15], v[12:13], v[16:17]
	v_mov_b32_e32 v16, 0xa595c56f
	;; [unrolled: 3-line block ×17, first 2 shown]
	v_mov_b32_e32 v15, 0xbfd55555
	v_fmac_f64_e32 v[14:15], v[12:13], v[16:17]
	v_mul_f64 v[12:13], v[12:13], v[14:15]
	v_fmac_f64_e32 v[10:11], v[10:11], v[12:13]
	v_mov_b32_e32 v0, 0x54442d18
	v_mov_b32_e32 v12, 0x7f3321d2
	v_cmp_gt_i32_e32 vcc, 0, v1
	v_mov_b32_e32 v13, 0x4002d97c
	s_brev_b32 s15, -2
	v_cndmask_b32_e32 v12, v0, v12, vcc
	v_mov_b32_e32 v0, 0x3fe921fb
	v_cndmask_b32_e32 v0, v0, v13, vcc
	s_mov_b32 s14, 0x54442d18
	v_bfi_b32 v13, s15, v0, v3
	v_ashrrev_i32_e32 v0, 31, v1
	s_mov_b32 s15, 0x3ff921fb
	v_and_b32_e32 v14, 0x400921fb, v0
	v_and_b32_e32 v15, 0x54442d18, v0
	v_add_f64 v[0:1], -v[10:11], s[14:15]
	v_cndmask_b32_e64 v1, v11, v1, s[0:1]
	v_cndmask_b32_e64 v0, v10, v0, s[0:1]
	s_mov_b32 s15, s16
	v_add_f64 v[10:11], -v[0:1], s[14:15]
	v_cndmask_b32_e32 v1, v1, v11, vcc
	v_cndmask_b32_e32 v0, v0, v10, vcc
	v_cmp_eq_f64_e32 vcc, 0, v[2:3]
	s_nop 1
	v_cndmask_b32_e32 v0, v0, v15, vcc
	v_cndmask_b32_e32 v1, v1, v14, vcc
	s_and_b64 vcc, s[10:11], s[12:13]
	v_cndmask_b32_e32 v13, v1, v13, vcc
	v_cndmask_b32_e32 v12, v0, v12, vcc
.LBB36_17:
	s_or_b64 exec, exec, s[2:3]
                                        ; implicit-def: $vgpr10_vgpr11
                                        ; implicit-def: $vgpr0_vgpr1
.LBB36_18:
	s_andn2_saveexec_b64 s[2:3], s[8:9]
	s_cbranch_execz .LBB36_24
; %bb.19:
	s_mov_b32 s8, 0x6a3f9475
	s_mov_b32 s9, 0x20ca2fe7
	v_cmp_ngt_f64_e32 vcc, s[8:9], v[10:11]
                                        ; implicit-def: $vgpr8_vgpr9
                                        ; implicit-def: $vgpr12_vgpr13
	s_and_saveexec_b64 s[8:9], vcc
	s_xor_b64 s[8:9], exec, s[8:9]
	s_cbranch_execz .LBB36_21
; %bb.20:
	v_mul_f64 v[8:9], v[10:11], v[10:11]
	v_add_f64 v[10:11], v[8:9], 1.0
	v_add_f64 v[12:13], v[10:11], -1.0
	v_add_f64 v[14:15], v[12:13], -v[10:11]
	v_add_f64 v[14:15], v[14:15], 1.0
	v_add_f64 v[12:13], v[8:9], -v[12:13]
	s_mov_b32 s10, 0x55555555
	v_add_f64 v[12:13], v[12:13], v[14:15]
	v_frexp_mant_f64_e32 v[14:15], v[10:11]
	s_mov_b32 s11, 0x3fe55555
	v_frexp_exp_i32_f64_e32 v16, v[10:11]
	v_cmp_gt_f64_e32 vcc, s[10:11], v[14:15]
	s_mov_b32 s10, 0xbf559e2b
	s_mov_b32 s11, 0x3fc3ab76
	v_subbrev_co_u32_e32 v30, vcc, 0, v16, vcc
	v_sub_u32_e32 v14, 0, v30
	v_ldexp_f64 v[10:11], v[10:11], v14
	v_ldexp_f64 v[12:13], v[12:13], v14
	v_add_f64 v[14:15], v[10:11], -1.0
	v_add_f64 v[20:21], v[10:11], 1.0
	v_add_f64 v[16:17], v[14:15], 1.0
	v_add_f64 v[22:23], v[20:21], -1.0
	v_add_f64 v[16:17], v[10:11], -v[16:17]
	v_add_f64 v[10:11], v[10:11], -v[22:23]
	v_add_f64 v[10:11], v[12:13], v[10:11]
	v_add_f64 v[16:17], v[12:13], v[16:17]
	;; [unrolled: 1-line block ×3, first 2 shown]
	v_rcp_f64_e32 v[22:23], v[12:13]
	v_add_f64 v[18:19], v[14:15], v[16:17]
	v_add_f64 v[14:15], v[14:15], -v[18:19]
	v_add_f64 v[14:15], v[16:17], v[14:15]
	v_add_f64 v[16:17], v[20:21], -v[12:13]
	v_add_f64 v[10:11], v[10:11], v[16:17]
	v_fma_f64 v[16:17], -v[12:13], v[22:23], 1.0
	v_fmac_f64_e32 v[22:23], v[16:17], v[22:23]
	v_fma_f64 v[16:17], -v[12:13], v[22:23], 1.0
	v_fmac_f64_e32 v[22:23], v[16:17], v[22:23]
	v_mul_f64 v[16:17], v[18:19], v[22:23]
	v_mul_f64 v[20:21], v[12:13], v[16:17]
	v_fma_f64 v[24:25], v[16:17], v[12:13], -v[20:21]
	v_fmac_f64_e32 v[24:25], v[16:17], v[10:11]
	v_add_f64 v[26:27], v[20:21], v[24:25]
	v_add_f64 v[28:29], v[18:19], -v[26:27]
	v_add_f64 v[18:19], v[18:19], -v[28:29]
	;; [unrolled: 1-line block ×4, first 2 shown]
	v_add_f64 v[14:15], v[14:15], v[18:19]
	v_add_f64 v[18:19], v[20:21], -v[24:25]
	v_add_f64 v[14:15], v[18:19], v[14:15]
	v_add_f64 v[18:19], v[28:29], v[14:15]
	v_add_f64 v[20:21], v[28:29], -v[18:19]
	v_add_f64 v[14:15], v[14:15], v[20:21]
	v_mul_f64 v[20:21], v[22:23], v[18:19]
	v_mul_f64 v[24:25], v[12:13], v[20:21]
	v_fma_f64 v[12:13], v[20:21], v[12:13], -v[24:25]
	v_fmac_f64_e32 v[12:13], v[20:21], v[10:11]
	v_add_f64 v[10:11], v[24:25], v[12:13]
	v_add_f64 v[26:27], v[18:19], -v[10:11]
	v_add_f64 v[18:19], v[18:19], -v[26:27]
	;; [unrolled: 1-line block ×4, first 2 shown]
	v_add_f64 v[10:11], v[14:15], v[10:11]
	v_add_f64 v[12:13], v[24:25], -v[12:13]
	v_add_f64 v[10:11], v[12:13], v[10:11]
	v_add_f64 v[12:13], v[16:17], v[20:21]
	;; [unrolled: 1-line block ×3, first 2 shown]
	v_add_f64 v[14:15], v[12:13], -v[16:17]
	v_mul_f64 v[10:11], v[22:23], v[10:11]
	v_add_f64 v[14:15], v[20:21], -v[14:15]
	v_add_f64 v[10:11], v[14:15], v[10:11]
	v_add_f64 v[14:15], v[12:13], v[10:11]
	v_add_f64 v[12:13], v[14:15], -v[12:13]
	v_add_f64 v[10:11], v[10:11], -v[12:13]
	v_mul_f64 v[12:13], v[14:15], v[14:15]
	v_mov_b32_e32 v16, 0x6b47b09a
	v_mov_b32_e32 v17, 0x3fc38538
	v_fmac_f64_e32 v[16:17], s[10:11], v[12:13]
	v_mov_b32_e32 v18, 0xd7f4df2e
	v_mov_b32_e32 v19, 0x3fc7474d
	v_fmac_f64_e32 v[18:19], v[12:13], v[16:17]
	;; [unrolled: 3-line block ×5, first 2 shown]
	v_mov_b32_e32 v18, 0x55555780
	v_mov_b32_e32 v19, 0x3fe55555
	s_mov_b32 s10, 0xfefa39ef
	v_fmac_f64_e32 v[18:19], v[12:13], v[16:17]
	v_cvt_f64_i32_e32 v[16:17], v30
	s_mov_b32 s11, 0x3fe62e42
	v_mul_f64 v[20:21], v[16:17], s[10:11]
	v_fma_f64 v[22:23], v[16:17], s[10:11], -v[20:21]
	s_mov_b32 s10, 0x3b39803f
	s_mov_b32 s11, 0x3c7abc9e
	v_fmac_f64_e32 v[22:23], s[10:11], v[16:17]
	v_add_f64 v[16:17], v[20:21], v[22:23]
	v_add_f64 v[20:21], v[16:17], -v[20:21]
	v_mul_f64 v[12:13], v[14:15], v[12:13]
	v_add_f64 v[20:21], v[22:23], -v[20:21]
	v_ldexp_f64 v[22:23], v[14:15], 1
	v_mul_f64 v[12:13], v[12:13], v[18:19]
	v_add_f64 v[14:15], v[22:23], v[12:13]
	v_add_f64 v[18:19], v[14:15], -v[22:23]
	v_ldexp_f64 v[10:11], v[10:11], 1
	v_add_f64 v[12:13], v[12:13], -v[18:19]
	v_add_f64 v[10:11], v[10:11], v[12:13]
	v_add_f64 v[12:13], v[14:15], v[10:11]
	v_add_f64 v[14:15], v[12:13], -v[14:15]
	v_add_f64 v[10:11], v[10:11], -v[14:15]
	v_add_f64 v[14:15], v[16:17], v[12:13]
	v_add_f64 v[18:19], v[14:15], -v[16:17]
	v_add_f64 v[22:23], v[14:15], -v[18:19]
	;; [unrolled: 1-line block ×4, first 2 shown]
	v_add_f64 v[12:13], v[12:13], v[16:17]
	v_add_f64 v[16:17], v[20:21], v[10:11]
	v_add_f64 v[18:19], v[16:17], -v[20:21]
	v_add_f64 v[12:13], v[16:17], v[12:13]
	v_add_f64 v[22:23], v[16:17], -v[18:19]
	;; [unrolled: 2-line block ×3, first 2 shown]
	v_add_f64 v[10:11], v[10:11], -v[18:19]
	v_add_f64 v[14:15], v[16:17], -v[14:15]
	v_add_f64 v[10:11], v[10:11], v[20:21]
	v_add_f64 v[12:13], v[12:13], -v[14:15]
	v_add_f64 v[10:11], v[10:11], v[12:13]
	v_max_f64 v[12:13], |v[2:3]|, |v[2:3]|
	v_max_f64 v[14:15], |v[0:1]|, |v[0:1]|
	v_add_f64 v[10:11], v[16:17], v[10:11]
	v_max_f64 v[16:17], v[14:15], v[12:13]
	v_min_f64 v[12:13], v[14:15], v[12:13]
	v_div_scale_f64 v[14:15], s[12:13], v[16:17], v[16:17], v[12:13]
	v_rcp_f64_e32 v[18:19], v[14:15]
	s_mov_b32 s10, 0
	s_mov_b32 s11, 0x7ff00000
	v_mul_f64 v[10:11], v[10:11], 0.5
	v_mov_b32_e32 v20, 0x7ff00000
	v_cmp_neq_f64_e32 vcc, s[10:11], v[8:9]
	s_mov_b32 s10, 0xb5e68a13
	s_mov_b32 s11, 0x3eeba404
	v_cndmask_b32_e32 v9, v20, v11, vcc
	v_cndmask_b32_e32 v8, 0, v10, vcc
	v_fma_f64 v[10:11], -v[14:15], v[18:19], 1.0
	v_fmac_f64_e32 v[18:19], v[18:19], v[10:11]
	v_fma_f64 v[10:11], -v[14:15], v[18:19], 1.0
	v_fmac_f64_e32 v[18:19], v[18:19], v[10:11]
	v_div_scale_f64 v[10:11], vcc, v[12:13], v[16:17], v[12:13]
	v_mul_f64 v[20:21], v[10:11], v[18:19]
	v_fma_f64 v[10:11], -v[14:15], v[20:21], v[10:11]
	v_mov_b32_e32 v14, 0xbd3237f4
	s_nop 0
	v_div_fmas_f64 v[10:11], v[10:11], v[18:19], v[20:21]
	v_div_fixup_f64 v[10:11], v[10:11], v[16:17], v[12:13]
	v_mul_f64 v[12:13], v[10:11], v[10:11]
	v_mov_b32_e32 v15, 0xbf23e260
	v_fmac_f64_e32 v[14:15], s[10:11], v[12:13]
	v_mov_b32_e32 v16, 0x69efb384
	v_mov_b32_e32 v17, 0x3f4b2bb0
	v_fmac_f64_e32 v[16:17], v[12:13], v[14:15]
	v_mov_b32_e32 v14, 0xaf56de9b
	;; [unrolled: 3-line block ×18, first 2 shown]
	v_mov_b32_e32 v15, 0xbfd55555
	v_fmac_f64_e32 v[14:15], v[12:13], v[16:17]
	v_mul_f64 v[12:13], v[12:13], v[14:15]
	s_movk_i32 s12, 0x204
	v_fmac_f64_e32 v[10:11], v[10:11], v[12:13]
	v_cmp_class_f64_e64 s[10:11], v[2:3], s12
	v_cmp_class_f64_e64 s[12:13], v[0:1], s12
	v_mov_b32_e32 v0, 0x54442d18
	v_mov_b32_e32 v12, 0x7f3321d2
	v_cmp_gt_i32_e32 vcc, 0, v1
	v_mov_b32_e32 v13, 0x4002d97c
	s_brev_b32 s15, -2
	v_cndmask_b32_e32 v12, v0, v12, vcc
	v_mov_b32_e32 v0, 0x3fe921fb
	v_cndmask_b32_e32 v0, v0, v13, vcc
	s_mov_b32 s14, 0x54442d18
	v_bfi_b32 v13, s15, v0, v3
	v_ashrrev_i32_e32 v0, 31, v1
	s_mov_b32 s15, 0x3ff921fb
	s_mov_b32 s16, 0x400921fb
	v_and_b32_e32 v14, 0x400921fb, v0
	v_and_b32_e32 v15, 0x54442d18, v0
	v_add_f64 v[0:1], -v[10:11], s[14:15]
	v_cndmask_b32_e64 v1, v11, v1, s[0:1]
	v_cndmask_b32_e64 v0, v10, v0, s[0:1]
	s_mov_b32 s15, s16
	v_add_f64 v[10:11], -v[0:1], s[14:15]
	v_cndmask_b32_e32 v1, v1, v11, vcc
	v_cndmask_b32_e32 v0, v0, v10, vcc
	v_cmp_eq_f64_e32 vcc, 0, v[2:3]
                                        ; implicit-def: $vgpr10_vgpr11
	s_nop 1
	v_cndmask_b32_e32 v0, v0, v15, vcc
	v_cndmask_b32_e32 v1, v1, v14, vcc
	s_and_b64 vcc, s[12:13], s[10:11]
	v_cndmask_b32_e32 v13, v1, v13, vcc
	v_cndmask_b32_e32 v12, v0, v12, vcc
                                        ; implicit-def: $vgpr0_vgpr1
.LBB36_21:
	s_andn2_saveexec_b64 s[8:9], s[8:9]
	s_cbranch_execz .LBB36_23
; %bb.22:
	v_max_f64 v[8:9], |v[2:3]|, |v[2:3]|
	v_max_f64 v[12:13], |v[0:1]|, |v[0:1]|
	v_max_f64 v[14:15], v[12:13], v[8:9]
	v_min_f64 v[12:13], v[12:13], v[8:9]
	v_div_scale_f64 v[16:17], s[10:11], v[14:15], v[14:15], v[12:13]
	v_rcp_f64_e32 v[18:19], v[16:17]
	v_mul_f64 v[8:9], v[10:11], 0.5
	v_mul_f64 v[8:9], v[10:11], v[8:9]
	s_mov_b32 s10, 0xb5e68a13
	v_fma_f64 v[10:11], -v[16:17], v[18:19], 1.0
	v_fmac_f64_e32 v[18:19], v[18:19], v[10:11]
	v_fma_f64 v[10:11], -v[16:17], v[18:19], 1.0
	v_fmac_f64_e32 v[18:19], v[18:19], v[10:11]
	v_div_scale_f64 v[10:11], vcc, v[12:13], v[14:15], v[12:13]
	v_mul_f64 v[20:21], v[10:11], v[18:19]
	v_fma_f64 v[10:11], -v[16:17], v[20:21], v[10:11]
	s_mov_b32 s11, 0x3eeba404
	s_nop 0
	v_div_fmas_f64 v[10:11], v[10:11], v[18:19], v[20:21]
	v_div_fixup_f64 v[10:11], v[10:11], v[14:15], v[12:13]
	v_mul_f64 v[12:13], v[10:11], v[10:11]
	v_mov_b32_e32 v14, 0xbd3237f4
	v_mov_b32_e32 v15, 0xbf23e260
	v_fmac_f64_e32 v[14:15], s[10:11], v[12:13]
	v_mov_b32_e32 v16, 0x69efb384
	v_mov_b32_e32 v17, 0x3f4b2bb0
	v_fmac_f64_e32 v[16:17], v[12:13], v[14:15]
	;; [unrolled: 3-line block ×19, first 2 shown]
	v_mul_f64 v[12:13], v[12:13], v[14:15]
	s_movk_i32 s12, 0x204
	v_fmac_f64_e32 v[10:11], v[10:11], v[12:13]
	v_cmp_class_f64_e64 s[10:11], v[2:3], s12
	v_cmp_class_f64_e64 s[12:13], v[0:1], s12
	v_mov_b32_e32 v0, 0x54442d18
	v_mov_b32_e32 v12, 0x7f3321d2
	v_cmp_gt_i32_e32 vcc, 0, v1
	v_mov_b32_e32 v13, 0x4002d97c
	s_brev_b32 s15, -2
	v_cndmask_b32_e32 v12, v0, v12, vcc
	v_mov_b32_e32 v0, 0x3fe921fb
	v_cndmask_b32_e32 v0, v0, v13, vcc
	s_mov_b32 s14, 0x54442d18
	v_bfi_b32 v13, s15, v0, v3
	v_ashrrev_i32_e32 v0, 31, v1
	s_mov_b32 s15, 0x3ff921fb
	s_mov_b32 s16, 0x400921fb
	v_and_b32_e32 v14, 0x400921fb, v0
	v_and_b32_e32 v15, 0x54442d18, v0
	v_add_f64 v[0:1], -v[10:11], s[14:15]
	v_cndmask_b32_e64 v1, v11, v1, s[0:1]
	v_cndmask_b32_e64 v0, v10, v0, s[0:1]
	s_mov_b32 s15, s16
	v_add_f64 v[10:11], -v[0:1], s[14:15]
	v_cndmask_b32_e32 v1, v1, v11, vcc
	v_cndmask_b32_e32 v0, v0, v10, vcc
	v_cmp_eq_f64_e32 vcc, 0, v[2:3]
	s_nop 1
	v_cndmask_b32_e32 v0, v0, v15, vcc
	v_cndmask_b32_e32 v1, v1, v14, vcc
	s_and_b64 vcc, s[12:13], s[10:11]
	v_cndmask_b32_e32 v13, v1, v13, vcc
	v_cndmask_b32_e32 v12, v0, v12, vcc
.LBB36_23:
	s_or_b64 exec, exec, s[8:9]
.LBB36_24:
	s_or_b64 exec, exec, s[2:3]
                                        ; implicit-def: $vgpr0_vgpr1
.LBB36_25:
	s_andn2_saveexec_b64 s[2:3], s[6:7]
	s_cbranch_execz .LBB36_27
; %bb.26:
	s_mov_b32 s6, 0x8b145769
	s_mov_b32 s7, 0x4005bf0a
	v_div_scale_f64 v[8:9], s[8:9], s[6:7], s[6:7], v[0:1]
	v_rcp_f64_e32 v[10:11], v[8:9]
	v_mov_b32_e32 v24, 0x7ff80000
	s_mov_b32 s12, 0x400921fb
	v_fma_f64 v[12:13], -v[8:9], v[10:11], 1.0
	v_fmac_f64_e32 v[10:11], v[10:11], v[12:13]
	v_fma_f64 v[12:13], -v[8:9], v[10:11], 1.0
	v_fmac_f64_e32 v[10:11], v[10:11], v[12:13]
	v_div_scale_f64 v[12:13], vcc, v[0:1], s[6:7], v[0:1]
	v_mul_f64 v[14:15], v[12:13], v[10:11]
	v_fma_f64 v[8:9], -v[8:9], v[14:15], v[12:13]
	v_div_scale_f64 v[12:13], s[8:9], s[6:7], s[6:7], v[2:3]
	v_rcp_f64_e32 v[16:17], v[12:13]
	v_div_fmas_f64 v[8:9], v[8:9], v[10:11], v[14:15]
	v_div_fixup_f64 v[8:9], v[8:9], s[6:7], v[0:1]
	v_fma_f64 v[10:11], -v[12:13], v[16:17], 1.0
	v_fmac_f64_e32 v[16:17], v[16:17], v[10:11]
	v_fma_f64 v[10:11], -v[12:13], v[16:17], 1.0
	v_fmac_f64_e32 v[16:17], v[16:17], v[10:11]
	v_div_scale_f64 v[10:11], vcc, v[2:3], s[6:7], v[2:3]
	v_mul_f64 v[14:15], v[10:11], v[16:17]
	v_fma_f64 v[10:11], -v[12:13], v[14:15], v[10:11]
	s_nop 1
	v_div_fmas_f64 v[10:11], v[10:11], v[16:17], v[14:15]
	v_div_fixup_f64 v[10:11], v[10:11], s[6:7], v[2:3]
	v_max_f64 v[12:13], |v[8:9]|, |v[10:11]|
	v_frexp_exp_i32_f64_e32 v20, v[12:13]
	v_sub_u32_e32 v14, 0, v20
	v_ldexp_f64 v[12:13], |v[8:9]|, v14
	v_ldexp_f64 v[14:15], |v[10:11]|, v14
	v_mul_f64 v[14:15], v[14:15], v[14:15]
	v_fmac_f64_e32 v[14:15], v[12:13], v[12:13]
	v_rsq_f64_e32 v[12:13], v[14:15]
	v_cmp_eq_f64_e32 vcc, 0, v[14:15]
	s_movk_i32 s6, 0x204
	v_cmp_class_f64_e64 s[8:9], v[8:9], s6
	v_mul_f64 v[16:17], v[14:15], v[12:13]
	v_mul_f64 v[12:13], v[12:13], 0.5
	v_fma_f64 v[18:19], -v[12:13], v[16:17], 0.5
	v_fmac_f64_e32 v[16:17], v[16:17], v[18:19]
	v_fmac_f64_e32 v[12:13], v[12:13], v[18:19]
	v_fma_f64 v[18:19], -v[16:17], v[16:17], v[14:15]
	v_fmac_f64_e32 v[16:17], v[18:19], v[12:13]
	v_cndmask_b32_e32 v13, v17, v15, vcc
	v_cndmask_b32_e32 v12, v16, v14, vcc
	v_ldexp_f64 v[12:13], v[12:13], v20
	v_cmp_o_f64_e32 vcc, v[8:9], v[10:11]
	v_cmp_class_f64_e64 s[10:11], v[10:11], s6
	v_mov_b32_e32 v8, 0x7ff00000
	v_cndmask_b32_e32 v12, 0, v12, vcc
	v_cndmask_b32_e32 v13, v24, v13, vcc
	s_or_b64 vcc, s[8:9], s[10:11]
	v_cndmask_b32_e32 v11, v13, v8, vcc
	v_cndmask_b32_e64 v10, v12, 0, vcc
	s_mov_b32 s8, 0x55555555
	v_frexp_mant_f64_e32 v[8:9], v[10:11]
	s_mov_b32 s9, 0x3fe55555
	v_cmp_gt_f64_e32 vcc, s[8:9], v[8:9]
	v_frexp_exp_i32_f64_e32 v12, v[10:11]
	s_mov_b32 s8, 0xbf559e2b
	v_cndmask_b32_e64 v13, 0, 1, vcc
	v_ldexp_f64 v[8:9], v[8:9], v13
	v_subbrev_co_u32_e32 v25, vcc, 0, v12, vcc
	v_add_f64 v[12:13], v[8:9], 1.0
	v_rcp_f64_e32 v[14:15], v[12:13]
	v_add_f64 v[18:19], v[12:13], -1.0
	v_add_f64 v[16:17], v[8:9], -1.0
	v_add_f64 v[8:9], v[8:9], -v[18:19]
	v_fma_f64 v[18:19], -v[12:13], v[14:15], 1.0
	v_fmac_f64_e32 v[14:15], v[18:19], v[14:15]
	v_fma_f64 v[18:19], -v[12:13], v[14:15], 1.0
	v_fmac_f64_e32 v[14:15], v[18:19], v[14:15]
	v_mul_f64 v[18:19], v[16:17], v[14:15]
	v_mul_f64 v[20:21], v[12:13], v[18:19]
	v_fma_f64 v[12:13], v[18:19], v[12:13], -v[20:21]
	v_fmac_f64_e32 v[12:13], v[18:19], v[8:9]
	v_add_f64 v[8:9], v[20:21], v[12:13]
	v_add_f64 v[22:23], v[16:17], -v[8:9]
	v_add_f64 v[20:21], v[8:9], -v[20:21]
	;; [unrolled: 1-line block ×5, first 2 shown]
	v_add_f64 v[8:9], v[12:13], v[8:9]
	v_add_f64 v[8:9], v[22:23], v[8:9]
	v_mul_f64 v[8:9], v[14:15], v[8:9]
	v_add_f64 v[12:13], v[18:19], v[8:9]
	v_add_f64 v[14:15], v[12:13], -v[18:19]
	v_add_f64 v[8:9], v[8:9], -v[14:15]
	v_mul_f64 v[14:15], v[12:13], v[12:13]
	v_mov_b32_e32 v16, 0x6b47b09a
	v_mov_b32_e32 v17, 0x3fc38538
	s_mov_b32 s9, 0x3fc3ab76
	v_fmac_f64_e32 v[16:17], s[8:9], v[14:15]
	v_mov_b32_e32 v18, 0xd7f4df2e
	v_mov_b32_e32 v19, 0x3fc7474d
	v_fmac_f64_e32 v[18:19], v[14:15], v[16:17]
	v_mov_b32_e32 v16, 0x16291751
	v_mov_b32_e32 v17, 0x3fcc71c0
	;; [unrolled: 3-line block ×5, first 2 shown]
	v_fmac_f64_e32 v[18:19], v[14:15], v[16:17]
	v_ldexp_f64 v[16:17], v[12:13], 1
	v_mul_f64 v[12:13], v[12:13], v[14:15]
	v_mul_f64 v[12:13], v[12:13], v[18:19]
	v_add_f64 v[14:15], v[16:17], v[12:13]
	v_add_f64 v[16:17], v[14:15], -v[16:17]
	v_ldexp_f64 v[8:9], v[8:9], 1
	v_add_f64 v[12:13], v[12:13], -v[16:17]
	v_add_f64 v[8:9], v[8:9], v[12:13]
	v_add_f64 v[12:13], v[14:15], v[8:9]
	v_add_f64 v[14:15], v[12:13], -v[14:15]
	s_mov_b32 s8, 0xfefa39ef
	v_add_f64 v[8:9], v[8:9], -v[14:15]
	v_cvt_f64_i32_e32 v[14:15], v25
	s_mov_b32 s9, 0x3fe62e42
	v_mul_f64 v[16:17], v[14:15], s[8:9]
	v_fma_f64 v[18:19], v[14:15], s[8:9], -v[16:17]
	s_mov_b32 s8, 0x3b39803f
	s_mov_b32 s9, 0x3c7abc9e
	v_fmac_f64_e32 v[18:19], s[8:9], v[14:15]
	v_add_f64 v[14:15], v[16:17], v[18:19]
	v_add_f64 v[16:17], v[14:15], -v[16:17]
	v_add_f64 v[16:17], v[18:19], -v[16:17]
	v_add_f64 v[18:19], v[14:15], v[12:13]
	v_add_f64 v[20:21], v[18:19], -v[14:15]
	v_add_f64 v[22:23], v[18:19], -v[20:21]
	;; [unrolled: 1-line block ×4, first 2 shown]
	v_add_f64 v[12:13], v[12:13], v[14:15]
	v_add_f64 v[14:15], v[16:17], v[8:9]
	v_add_f64 v[20:21], v[14:15], -v[16:17]
	v_add_f64 v[22:23], v[14:15], -v[20:21]
	v_add_f64 v[12:13], v[14:15], v[12:13]
	v_add_f64 v[16:17], v[16:17], -v[22:23]
	v_add_f64 v[8:9], v[8:9], -v[20:21]
	v_add_f64 v[14:15], v[18:19], v[12:13]
	v_add_f64 v[8:9], v[8:9], v[16:17]
	v_add_f64 v[16:17], v[14:15], -v[18:19]
	v_add_f64 v[12:13], v[12:13], -v[16:17]
	v_add_f64 v[8:9], v[8:9], v[12:13]
	v_add_f64 v[8:9], v[14:15], v[8:9]
	v_max_f64 v[12:13], |v[2:3]|, |v[2:3]|
	v_max_f64 v[14:15], |v[0:1]|, |v[0:1]|
	v_max_f64 v[16:17], v[14:15], v[12:13]
	v_min_f64 v[12:13], v[14:15], v[12:13]
	v_div_scale_f64 v[14:15], s[8:9], v[16:17], v[16:17], v[12:13]
	v_cmp_class_f64_e64 vcc, v[10:11], s6
	v_rcp_f64_e32 v[18:19], v[14:15]
	v_mov_b32_e32 v20, 0xfff00000
	v_cndmask_b32_e32 v9, v9, v11, vcc
	v_cndmask_b32_e32 v8, v8, v10, vcc
	v_add_f64 v[8:9], v[8:9], 1.0
	v_cmp_ngt_f64_e32 vcc, 0, v[10:11]
	s_mov_b32 s8, 0xb5e68a13
	s_mov_b32 s9, 0x3eeba404
	v_cndmask_b32_e32 v9, v24, v9, vcc
	v_cmp_nge_f64_e32 vcc, 0, v[10:11]
	s_brev_b32 s11, -2
	s_mov_b32 s10, 0x54442d18
	v_cndmask_b32_e32 v8, 0, v8, vcc
	v_cmp_neq_f64_e32 vcc, 0, v[10:11]
	v_fma_f64 v[10:11], -v[14:15], v[18:19], 1.0
	v_fmac_f64_e32 v[18:19], v[18:19], v[10:11]
	v_fma_f64 v[10:11], -v[14:15], v[18:19], 1.0
	v_cndmask_b32_e32 v9, v20, v9, vcc
	v_fmac_f64_e32 v[18:19], v[18:19], v[10:11]
	v_div_scale_f64 v[10:11], vcc, v[12:13], v[16:17], v[12:13]
	v_mul_f64 v[20:21], v[10:11], v[18:19]
	v_fma_f64 v[10:11], -v[14:15], v[20:21], v[10:11]
	v_mov_b32_e32 v14, 0xbd3237f4
	s_nop 0
	v_div_fmas_f64 v[10:11], v[10:11], v[18:19], v[20:21]
	v_div_fixup_f64 v[10:11], v[10:11], v[16:17], v[12:13]
	v_mul_f64 v[12:13], v[10:11], v[10:11]
	v_mov_b32_e32 v15, 0xbf23e260
	v_fmac_f64_e32 v[14:15], s[8:9], v[12:13]
	v_mov_b32_e32 v16, 0x69efb384
	v_mov_b32_e32 v17, 0x3f4b2bb0
	v_fmac_f64_e32 v[16:17], v[12:13], v[14:15]
	v_mov_b32_e32 v14, 0xaf56de9b
	;; [unrolled: 3-line block ×18, first 2 shown]
	v_mov_b32_e32 v15, 0xbfd55555
	v_fmac_f64_e32 v[14:15], v[12:13], v[16:17]
	v_mul_f64 v[12:13], v[12:13], v[14:15]
	v_fmac_f64_e32 v[10:11], v[10:11], v[12:13]
	v_cmp_class_f64_e64 s[8:9], v[2:3], s6
	v_cmp_class_f64_e64 s[6:7], v[0:1], s6
	v_mov_b32_e32 v0, 0x54442d18
	v_mov_b32_e32 v12, 0x7f3321d2
	v_cmp_gt_i32_e32 vcc, 0, v1
	v_mov_b32_e32 v13, 0x4002d97c
	s_nop 0
	v_cndmask_b32_e32 v12, v0, v12, vcc
	v_mov_b32_e32 v0, 0x3fe921fb
	v_cndmask_b32_e32 v0, v0, v13, vcc
	v_bfi_b32 v13, s11, v0, v3
	v_ashrrev_i32_e32 v0, 31, v1
	s_mov_b32 s11, 0x3ff921fb
	v_and_b32_e32 v14, 0x400921fb, v0
	v_and_b32_e32 v15, 0x54442d18, v0
	v_add_f64 v[0:1], -v[10:11], s[10:11]
	v_cndmask_b32_e64 v1, v11, v1, s[0:1]
	v_cndmask_b32_e64 v0, v10, v0, s[0:1]
	s_mov_b32 s11, s12
	v_add_f64 v[10:11], -v[0:1], s[10:11]
	v_cndmask_b32_e32 v1, v1, v11, vcc
	v_cndmask_b32_e32 v0, v0, v10, vcc
	v_cmp_eq_f64_e32 vcc, 0, v[2:3]
	s_nop 1
	v_cndmask_b32_e32 v0, v0, v15, vcc
	v_cndmask_b32_e32 v1, v1, v14, vcc
	s_and_b64 vcc, s[6:7], s[8:9]
	v_cndmask_b32_e32 v13, v1, v13, vcc
	v_cndmask_b32_e32 v12, v0, v12, vcc
.LBB36_27:
	s_or_b64 exec, exec, s[2:3]
                                        ; implicit-def: $vgpr0_vgpr1
.LBB36_28:
	s_andn2_saveexec_b64 s[0:1], s[4:5]
	s_cbranch_execz .LBB36_34
; %bb.29:
	s_mov_b32 s2, 0
	s_brev_b32 s3, 4
	v_cmp_nlt_f64_e64 s[4:5], |v[0:1]|, s[2:3]
	v_cmp_nlt_f64_e64 s[2:3], |v[2:3]|, s[2:3]
	s_or_b64 s[2:3], s[4:5], s[2:3]
                                        ; implicit-def: $vgpr10_vgpr11
	s_and_saveexec_b64 s[4:5], s[2:3]
	s_xor_b64 s[2:3], exec, s[4:5]
; %bb.30:
	v_mul_f64 v[10:11], v[2:3], v[2:3]
	v_fmac_f64_e32 v[10:11], v[0:1], v[0:1]
                                        ; implicit-def: $vgpr0_vgpr1
; %bb.31:
	s_andn2_saveexec_b64 s[2:3], s[2:3]
; %bb.32:
	v_mul_f64 v[8:9], v[2:3], 4.0
	v_mul_f64 v[0:1], v[0:1], 4.0
	v_mul_f64 v[8:9], v[8:9], v[8:9]
	v_fmac_f64_e32 v[8:9], v[0:1], v[0:1]
	v_ldexp_f64 v[10:11], v[8:9], -4
; %bb.33:
	s_or_b64 exec, exec, s[2:3]
	s_mov_b32 s2, 0x55555555
	v_frexp_mant_f64_e32 v[0:1], v[10:11]
	s_mov_b32 s3, 0x3fe55555
	v_cmp_gt_f64_e32 vcc, s[2:3], v[0:1]
	s_mov_b32 s2, 0xbf559e2b
	s_mov_b32 s3, 0x3fc3ab76
	v_cndmask_b32_e64 v8, 0, 1, vcc
	v_ldexp_f64 v[0:1], v[0:1], v8
	v_add_f64 v[8:9], v[0:1], 1.0
	v_rcp_f64_e32 v[12:13], v[8:9]
	v_add_f64 v[16:17], v[8:9], -1.0
	v_add_f64 v[14:15], v[0:1], -1.0
	v_add_f64 v[0:1], v[0:1], -v[16:17]
	v_fma_f64 v[16:17], -v[8:9], v[12:13], 1.0
	v_fmac_f64_e32 v[12:13], v[16:17], v[12:13]
	v_fma_f64 v[16:17], -v[8:9], v[12:13], 1.0
	v_fmac_f64_e32 v[12:13], v[16:17], v[12:13]
	v_mul_f64 v[16:17], v[14:15], v[12:13]
	v_mul_f64 v[18:19], v[8:9], v[16:17]
	v_fma_f64 v[8:9], v[16:17], v[8:9], -v[18:19]
	v_fmac_f64_e32 v[8:9], v[16:17], v[0:1]
	v_add_f64 v[0:1], v[18:19], v[8:9]
	v_add_f64 v[20:21], v[14:15], -v[0:1]
	v_add_f64 v[18:19], v[0:1], -v[18:19]
	;; [unrolled: 1-line block ×5, first 2 shown]
	v_add_f64 v[0:1], v[8:9], v[0:1]
	v_add_f64 v[0:1], v[20:21], v[0:1]
	v_mul_f64 v[0:1], v[12:13], v[0:1]
	v_add_f64 v[8:9], v[16:17], v[0:1]
	v_add_f64 v[12:13], v[8:9], -v[16:17]
	v_add_f64 v[0:1], v[0:1], -v[12:13]
	v_mul_f64 v[12:13], v[8:9], v[8:9]
	v_mov_b32_e32 v14, 0x6b47b09a
	v_mov_b32_e32 v15, 0x3fc38538
	v_fmac_f64_e32 v[14:15], s[2:3], v[12:13]
	v_mov_b32_e32 v16, 0xd7f4df2e
	v_mov_b32_e32 v17, 0x3fc7474d
	v_fmac_f64_e32 v[16:17], v[12:13], v[14:15]
	;; [unrolled: 3-line block ×6, first 2 shown]
	v_ldexp_f64 v[14:15], v[8:9], 1
	v_mul_f64 v[8:9], v[8:9], v[12:13]
	v_mul_f64 v[8:9], v[8:9], v[16:17]
	v_add_f64 v[12:13], v[14:15], v[8:9]
	v_add_f64 v[14:15], v[12:13], -v[14:15]
	v_ldexp_f64 v[0:1], v[0:1], 1
	v_add_f64 v[8:9], v[8:9], -v[14:15]
	v_add_f64 v[0:1], v[0:1], v[8:9]
	v_frexp_exp_i32_f64_e32 v2, v[10:11]
	v_add_f64 v[8:9], v[12:13], v[0:1]
	v_subbrev_co_u32_e32 v2, vcc, 0, v2, vcc
	v_add_f64 v[12:13], v[8:9], -v[12:13]
	s_mov_b32 s2, 0xfefa39ef
	v_add_f64 v[0:1], v[0:1], -v[12:13]
	v_cvt_f64_i32_e32 v[12:13], v2
	s_mov_b32 s3, 0x3fe62e42
	v_mul_f64 v[14:15], v[12:13], s[2:3]
	v_fma_f64 v[16:17], v[12:13], s[2:3], -v[14:15]
	s_mov_b32 s2, 0x3b39803f
	s_mov_b32 s3, 0x3c7abc9e
	v_fmac_f64_e32 v[16:17], s[2:3], v[12:13]
	v_add_f64 v[12:13], v[14:15], v[16:17]
	v_add_f64 v[14:15], v[12:13], -v[14:15]
	v_add_f64 v[14:15], v[16:17], -v[14:15]
	v_add_f64 v[16:17], v[12:13], v[8:9]
	v_add_f64 v[18:19], v[16:17], -v[12:13]
	v_add_f64 v[20:21], v[16:17], -v[18:19]
	;; [unrolled: 1-line block ×4, first 2 shown]
	v_add_f64 v[8:9], v[8:9], v[12:13]
	v_add_f64 v[12:13], v[14:15], v[0:1]
	v_add_f64 v[18:19], v[12:13], -v[14:15]
	v_add_f64 v[20:21], v[12:13], -v[18:19]
	v_add_f64 v[8:9], v[12:13], v[8:9]
	v_add_f64 v[14:15], v[14:15], -v[20:21]
	v_add_f64 v[0:1], v[0:1], -v[18:19]
	v_add_f64 v[12:13], v[16:17], v[8:9]
	v_add_f64 v[0:1], v[0:1], v[14:15]
	v_add_f64 v[14:15], v[12:13], -v[16:17]
	v_add_f64 v[8:9], v[8:9], -v[14:15]
	v_add_f64 v[0:1], v[0:1], v[8:9]
	s_movk_i32 s2, 0x204
	v_add_f64 v[0:1], v[12:13], v[0:1]
	v_cmp_class_f64_e64 vcc, v[10:11], s2
	v_mov_b32_e32 v2, 0x7ff80000
	v_mov_b32_e32 v12, 0
	v_cndmask_b32_e32 v0, v0, v10, vcc
	v_cndmask_b32_e32 v1, v1, v11, vcc
	v_cmp_ngt_f64_e32 vcc, 0, v[10:11]
	v_mov_b32_e32 v13, 0x7ff80000
	s_nop 0
	v_cndmask_b32_e32 v1, v2, v1, vcc
	v_cmp_nge_f64_e32 vcc, 0, v[10:11]
	s_nop 1
	v_cndmask_b32_e32 v8, 0, v0, vcc
	v_mov_b32_e32 v0, 0xfff00000
	v_cmp_neq_f64_e32 vcc, 0, v[10:11]
	s_nop 1
	v_cndmask_b32_e32 v9, v0, v1, vcc
.LBB36_34:
	s_or_b64 exec, exec, s[0:1]
	s_brev_b32 s0, -2
	v_bfi_b32 v13, s0, v13, v3
	v_mul_f64 v[2:3], v[6:7], v[8:9]
	v_mul_f64 v[0:1], v[6:7], v[12:13]
	v_fmac_f64_e32 v[2:3], v[4:5], v[12:13]
	v_fma_f64 v[10:11], v[4:5], v[8:9], -v[0:1]
	v_and_b32_e32 v5, 0x7fffffff, v3
	v_or_b32_e32 v0, v5, v2
	v_cmp_ne_u32_e32 vcc, 0, v0
                                        ; implicit-def: $vgpr0_vgpr1
	s_and_saveexec_b64 s[0:1], vcc
	s_xor_b64 s[4:5], exec, s[0:1]
	s_cbranch_execz .LBB36_40
; %bb.35:
	v_and_b32_e32 v4, 0x7fffffff, v11
	v_or_b32_e32 v0, v4, v10
	v_cmp_ne_u32_e32 vcc, 0, v0
                                        ; implicit-def: $vgpr0_vgpr1
	s_and_saveexec_b64 s[0:1], vcc
	s_xor_b64 s[6:7], exec, s[0:1]
	s_cbranch_execz .LBB36_67
; %bb.36:
	s_mov_b32 s0, 0x7ff00000
	v_cmp_gt_u32_e32 vcc, s0, v5
                                        ; implicit-def: $vgpr0_vgpr1
	s_and_saveexec_b64 s[0:1], vcc
	s_xor_b64 s[8:9], exec, s[0:1]
	s_cbranch_execz .LBB36_60
; %bb.37:
	v_add_u32_e32 v0, 0xbf79d1be, v11
	s_mov_b32 s0, 0x108aa2
	v_cmp_lt_u32_e32 vcc, s0, v0
                                        ; implicit-def: $vgpr0_vgpr1
	s_and_saveexec_b64 s[0:1], vcc
	s_xor_b64 s[2:3], exec, s[0:1]
	s_cbranch_execz .LBB36_49
; %bb.38:
	s_mov_b32 s0, 0
	s_mov_b32 s1, 0x41d00000
	v_cmp_nlt_f64_e64 s[10:11], |v[2:3]|, s[0:1]
                                        ; implicit-def: $vgpr12
                                        ; implicit-def: $vgpr0_vgpr1
                                        ; implicit-def: $vgpr4_vgpr5
	s_and_saveexec_b64 s[0:1], s[10:11]
	s_xor_b64 s[12:13], exec, s[0:1]
	s_cbranch_execz .LBB36_42
; %bb.39:
	s_mov_b32 s0, 0
	s_mov_b32 s1, 0x7b000000
	s_movk_i32 s14, 0xff80
	v_and_b32_e32 v8, 0x7fffffff, v3
	v_ldexp_f64 v[6:7], |v[2:3]|, s14
	v_cmp_ge_f64_e64 vcc, |v[2:3]|, s[0:1]
	v_trig_preop_f64 v[0:1], |v[2:3]|, 0
	v_trig_preop_f64 v[4:5], |v[2:3]|, 1
	v_cndmask_b32_e32 v7, v8, v7, vcc
	v_cndmask_b32_e32 v6, v2, v6, vcc
	v_mul_f64 v[12:13], v[0:1], v[6:7]
	v_mul_f64 v[8:9], v[4:5], v[6:7]
	v_fma_f64 v[0:1], v[0:1], v[6:7], -v[12:13]
	v_add_f64 v[14:15], v[8:9], v[0:1]
	v_add_f64 v[22:23], v[14:15], -v[8:9]
	v_add_f64 v[0:1], v[0:1], -v[22:23]
	;; [unrolled: 1-line block ×4, first 2 shown]
	v_fma_f64 v[4:5], v[4:5], v[6:7], -v[8:9]
	v_trig_preop_f64 v[8:9], |v[2:3]|, 2
	v_add_f64 v[0:1], v[0:1], v[22:23]
	v_mul_f64 v[22:23], v[8:9], v[6:7]
	v_add_f64 v[24:25], v[22:23], v[4:5]
	v_add_f64 v[16:17], v[12:13], v[14:15]
	;; [unrolled: 1-line block ×3, first 2 shown]
	v_ldexp_f64 v[18:19], v[16:17], -2
	v_add_f64 v[12:13], v[16:17], -v[12:13]
	v_add_f64 v[16:17], v[26:27], -v[24:25]
	;; [unrolled: 1-line block ×5, first 2 shown]
	v_add_f64 v[0:1], v[0:1], v[16:17]
	v_add_f64 v[16:17], v[24:25], -v[22:23]
	v_add_f64 v[4:5], v[4:5], -v[16:17]
	v_add_f64 v[16:17], v[24:25], -v[16:17]
	v_add_f64 v[16:17], v[22:23], -v[16:17]
	v_add_f64 v[4:5], v[4:5], v[16:17]
	s_mov_b32 s0, 0
	v_fract_f64_e32 v[20:21], v[18:19]
	v_add_f64 v[0:1], v[4:5], v[0:1]
	v_fma_f64 v[4:5], v[8:9], v[6:7], -v[22:23]
	s_mov_b32 s1, 0x7ff00000
	v_add_f64 v[12:13], v[14:15], -v[12:13]
	v_add_f64 v[0:1], v[4:5], v[0:1]
	v_ldexp_f64 v[4:5], v[20:21], 2
	v_cmp_neq_f64_e64 vcc, |v[18:19]|, s[0:1]
	v_add_f64 v[14:15], v[12:13], v[26:27]
	v_mov_b32_e32 v8, 0x40100000
	v_cndmask_b32_e32 v5, 0, v5, vcc
	v_cndmask_b32_e32 v4, 0, v4, vcc
	v_add_f64 v[6:7], v[14:15], v[4:5]
	v_cmp_gt_f64_e32 vcc, 0, v[6:7]
	v_mov_b32_e32 v6, 0
	v_add_f64 v[12:13], v[14:15], -v[12:13]
	v_cndmask_b32_e32 v7, 0, v8, vcc
	v_add_f64 v[4:5], v[4:5], v[6:7]
	v_add_f64 v[8:9], v[14:15], v[4:5]
	v_cvt_i32_f64_e32 v7, v[8:9]
	v_cvt_f64_i32_e32 v[8:9], v7
	v_add_f64 v[4:5], v[4:5], -v[8:9]
	v_add_f64 v[8:9], v[14:15], v[4:5]
	v_add_f64 v[12:13], v[26:27], -v[12:13]
	v_add_f64 v[4:5], v[8:9], -v[4:5]
	v_add_f64 v[0:1], v[12:13], v[0:1]
	v_add_f64 v[4:5], v[14:15], -v[4:5]
	v_add_f64 v[0:1], v[0:1], v[4:5]
	v_cmp_le_f64_e32 vcc, 0.5, v[8:9]
	v_mov_b32_e32 v4, 0x3ff00000
	s_mov_b32 s14, 0x33145c07
	v_addc_co_u32_e64 v12, s[0:1], 0, v7, vcc
	v_cndmask_b32_e32 v7, 0, v4, vcc
	v_add_f64 v[4:5], v[8:9], -v[6:7]
	v_add_f64 v[6:7], v[4:5], v[0:1]
	s_mov_b32 s0, 0x54442d18
	v_add_f64 v[4:5], v[6:7], -v[4:5]
	s_mov_b32 s1, 0x3ff921fb
	v_add_f64 v[0:1], v[0:1], -v[4:5]
	v_mul_f64 v[4:5], v[6:7], s[0:1]
	v_fma_f64 v[8:9], v[6:7], s[0:1], -v[4:5]
	s_mov_b32 s15, 0x3c91a626
	v_fmac_f64_e32 v[8:9], s[14:15], v[6:7]
	v_fmac_f64_e32 v[8:9], s[0:1], v[0:1]
	v_add_f64 v[0:1], v[4:5], v[8:9]
	v_add_f64 v[4:5], v[0:1], -v[4:5]
	v_add_f64 v[4:5], v[8:9], -v[4:5]
	s_andn2_saveexec_b64 s[0:1], s[12:13]
	s_cbranch_execz .LBB36_44
	s_branch .LBB36_43
.LBB36_40:
	s_andn2_saveexec_b64 s[2:3], s[4:5]
	s_cbranch_execz .LBB36_78
.LBB36_41:
	s_mov_b32 s0, 0x652b82fe
	s_mov_b32 s1, 0x3ff71547
	v_mul_f64 v[0:1], v[10:11], s[0:1]
	s_mov_b32 s0, 0xfefa39ef
	v_rndne_f64_e32 v[0:1], v[0:1]
	s_mov_b32 s1, 0xbfe62e42
	v_fma_f64 v[4:5], s[0:1], v[0:1], v[10:11]
	s_mov_b32 s0, 0x3b39803f
	s_mov_b32 s1, 0xbc7abc9e
	v_fmac_f64_e32 v[4:5], s[0:1], v[0:1]
	s_mov_b32 s0, 0x6a5dcb37
	v_mov_b32_e32 v6, 0xfca7ab0c
	v_mov_b32_e32 v7, 0x3e928af3
	s_mov_b32 s1, 0x3e5ade15
	v_fmac_f64_e32 v[6:7], s[0:1], v[4:5]
	v_mov_b32_e32 v8, 0x623fde64
	v_mov_b32_e32 v9, 0x3ec71dee
	v_fmac_f64_e32 v[8:9], v[4:5], v[6:7]
	v_mov_b32_e32 v6, 0x7c89e6b0
	v_mov_b32_e32 v7, 0x3efa0199
	;; [unrolled: 3-line block ×8, first 2 shown]
	s_mov_b32 s0, 0
	v_fmac_f64_e32 v[6:7], v[4:5], v[8:9]
	s_mov_b32 s1, 0x40900000
	v_fma_f64 v[6:7], v[4:5], v[6:7], 1.0
	v_cmp_nlt_f64_e32 vcc, s[0:1], v[10:11]
	s_mov_b32 s0, 0
	v_fma_f64 v[4:5], v[4:5], v[6:7], 1.0
	v_cvt_i32_f64_e32 v0, v[0:1]
	s_mov_b32 s1, 0xc090cc00
	v_ldexp_f64 v[0:1], v[4:5], v0
	v_mov_b32_e32 v4, 0x7ff00000
	v_cmp_ngt_f64_e64 s[0:1], s[0:1], v[10:11]
	v_cndmask_b32_e32 v1, v4, v1, vcc
	s_and_b64 vcc, s[0:1], vcc
	v_cndmask_b32_e64 v1, 0, v1, s[0:1]
	v_cndmask_b32_e32 v0, 0, v0, vcc
	s_or_b64 exec, exec, s[2:3]
	s_setpc_b64 s[30:31]
.LBB36_42:
	s_andn2_saveexec_b64 s[0:1], s[12:13]
	s_cbranch_execz .LBB36_44
.LBB36_43:
	s_mov_b32 s12, 0x6dc9c883
	s_mov_b32 s13, 0x3fe45f30
	v_mul_f64 v[0:1], |v[2:3]|, s[12:13]
	s_mov_b32 s12, 0x54442d18
	v_rndne_f64_e32 v[6:7], v[0:1]
	s_mov_b32 s13, 0xbff921fb
	v_fma_f64 v[0:1], v[6:7], s[12:13], |v[2:3]|
	s_mov_b32 s13, 0xbc91a626
	s_mov_b32 s12, 0x33145c00
	v_mul_f64 v[8:9], v[6:7], s[12:13]
	v_add_f64 v[14:15], v[0:1], v[8:9]
	v_fma_f64 v[4:5], s[12:13], v[6:7], v[0:1]
	s_mov_b32 s13, 0x3c91a626
	v_add_f64 v[0:1], v[0:1], -v[14:15]
	v_fma_f64 v[12:13], s[12:13], v[6:7], v[8:9]
	v_add_f64 v[0:1], v[0:1], v[8:9]
	v_add_f64 v[8:9], v[14:15], -v[4:5]
	v_add_f64 v[0:1], v[8:9], v[0:1]
	s_mov_b32 s12, 0x252049c0
	v_add_f64 v[8:9], v[0:1], -v[12:13]
	s_mov_b32 s13, 0xb97b839a
	v_fmac_f64_e32 v[8:9], s[12:13], v[6:7]
	v_add_f64 v[0:1], v[4:5], v[8:9]
	v_add_f64 v[4:5], v[0:1], -v[4:5]
	v_add_f64 v[4:5], v[8:9], -v[4:5]
	v_cvt_i32_f64_e32 v12, v[6:7]
.LBB36_44:
	s_or_b64 exec, exec, s[0:1]
                                        ; implicit-def: $vgpr13
                                        ; implicit-def: $vgpr6_vgpr7
                                        ; implicit-def: $vgpr8_vgpr9
	s_and_saveexec_b64 s[0:1], s[10:11]
	s_xor_b64 s[10:11], exec, s[0:1]
	s_cbranch_execz .LBB36_46
; %bb.45:
	s_mov_b32 s0, 0
	s_mov_b32 s1, 0x7b000000
	s_movk_i32 s12, 0xff80
	v_and_b32_e32 v13, 0x7fffffff, v3
	v_ldexp_f64 v[14:15], |v[2:3]|, s12
	v_cmp_ge_f64_e64 vcc, |v[2:3]|, s[0:1]
	v_trig_preop_f64 v[6:7], |v[2:3]|, 0
	v_trig_preop_f64 v[8:9], |v[2:3]|, 1
	v_cndmask_b32_e32 v15, v13, v15, vcc
	v_cndmask_b32_e32 v14, v2, v14, vcc
	v_mul_f64 v[18:19], v[6:7], v[14:15]
	v_mul_f64 v[16:17], v[8:9], v[14:15]
	v_fma_f64 v[6:7], v[6:7], v[14:15], -v[18:19]
	v_add_f64 v[20:21], v[16:17], v[6:7]
	v_add_f64 v[28:29], v[20:21], -v[16:17]
	v_add_f64 v[6:7], v[6:7], -v[28:29]
	v_add_f64 v[28:29], v[20:21], -v[28:29]
	v_add_f64 v[28:29], v[16:17], -v[28:29]
	v_fma_f64 v[8:9], v[8:9], v[14:15], -v[16:17]
	v_trig_preop_f64 v[16:17], |v[2:3]|, 2
	v_add_f64 v[6:7], v[6:7], v[28:29]
	v_mul_f64 v[28:29], v[16:17], v[14:15]
	v_add_f64 v[30:31], v[28:29], v[8:9]
	v_add_f64 v[22:23], v[18:19], v[20:21]
	;; [unrolled: 1-line block ×3, first 2 shown]
	v_ldexp_f64 v[24:25], v[22:23], -2
	v_add_f64 v[18:19], v[22:23], -v[18:19]
	v_add_f64 v[22:23], v[32:33], -v[30:31]
	;; [unrolled: 1-line block ×5, first 2 shown]
	v_add_f64 v[6:7], v[6:7], v[22:23]
	v_add_f64 v[22:23], v[30:31], -v[28:29]
	v_add_f64 v[8:9], v[8:9], -v[22:23]
	;; [unrolled: 1-line block ×4, first 2 shown]
	v_add_f64 v[8:9], v[8:9], v[22:23]
	s_mov_b32 s0, 0
	v_fract_f64_e32 v[26:27], v[24:25]
	v_add_f64 v[6:7], v[8:9], v[6:7]
	v_fma_f64 v[8:9], v[16:17], v[14:15], -v[28:29]
	s_mov_b32 s1, 0x7ff00000
	v_add_f64 v[18:19], v[20:21], -v[18:19]
	v_add_f64 v[6:7], v[8:9], v[6:7]
	v_ldexp_f64 v[8:9], v[26:27], 2
	v_cmp_neq_f64_e64 vcc, |v[24:25]|, s[0:1]
	v_add_f64 v[20:21], v[18:19], v[32:33]
	v_mov_b32_e32 v13, 0x40100000
	v_cndmask_b32_e32 v9, 0, v9, vcc
	v_cndmask_b32_e32 v8, 0, v8, vcc
	v_add_f64 v[14:15], v[20:21], v[8:9]
	v_cmp_gt_f64_e32 vcc, 0, v[14:15]
	v_mov_b32_e32 v14, 0
	v_add_f64 v[18:19], v[20:21], -v[18:19]
	v_cndmask_b32_e32 v15, 0, v13, vcc
	v_add_f64 v[8:9], v[8:9], v[14:15]
	v_add_f64 v[16:17], v[20:21], v[8:9]
	v_cvt_i32_f64_e32 v13, v[16:17]
	v_cvt_f64_i32_e32 v[16:17], v13
	v_add_f64 v[8:9], v[8:9], -v[16:17]
	v_add_f64 v[16:17], v[20:21], v[8:9]
	v_add_f64 v[18:19], v[32:33], -v[18:19]
	v_add_f64 v[8:9], v[16:17], -v[8:9]
	v_add_f64 v[6:7], v[18:19], v[6:7]
	v_add_f64 v[8:9], v[20:21], -v[8:9]
	v_add_f64 v[6:7], v[6:7], v[8:9]
	v_cmp_le_f64_e32 vcc, 0.5, v[16:17]
	v_mov_b32_e32 v8, 0x3ff00000
	s_mov_b32 s12, 0x33145c07
	v_cndmask_b32_e32 v15, 0, v8, vcc
	v_addc_co_u32_e64 v13, s[0:1], 0, v13, vcc
	v_add_f64 v[8:9], v[16:17], -v[14:15]
	v_add_f64 v[14:15], v[8:9], v[6:7]
	s_mov_b32 s0, 0x54442d18
	v_add_f64 v[8:9], v[14:15], -v[8:9]
	s_mov_b32 s1, 0x3ff921fb
	v_add_f64 v[6:7], v[6:7], -v[8:9]
	v_mul_f64 v[8:9], v[14:15], s[0:1]
	v_fma_f64 v[16:17], v[14:15], s[0:1], -v[8:9]
	s_mov_b32 s13, 0x3c91a626
	v_fmac_f64_e32 v[16:17], s[12:13], v[14:15]
	v_fmac_f64_e32 v[16:17], s[0:1], v[6:7]
	v_add_f64 v[6:7], v[8:9], v[16:17]
	v_add_f64 v[8:9], v[6:7], -v[8:9]
	v_add_f64 v[8:9], v[16:17], -v[8:9]
	s_andn2_saveexec_b64 s[0:1], s[10:11]
	s_cbranch_execnz .LBB36_47
	s_branch .LBB36_48
.LBB36_46:
	s_andn2_saveexec_b64 s[0:1], s[10:11]
	s_cbranch_execz .LBB36_48
.LBB36_47:
	s_mov_b32 s10, 0x6dc9c883
	s_mov_b32 s11, 0x3fe45f30
	v_mul_f64 v[6:7], |v[2:3]|, s[10:11]
	s_mov_b32 s10, 0x54442d18
	v_rndne_f64_e32 v[14:15], v[6:7]
	s_mov_b32 s11, 0xbff921fb
	v_fma_f64 v[6:7], v[14:15], s[10:11], |v[2:3]|
	s_mov_b32 s11, 0xbc91a626
	s_mov_b32 s10, 0x33145c00
	v_mul_f64 v[16:17], v[14:15], s[10:11]
	v_add_f64 v[20:21], v[6:7], v[16:17]
	v_fma_f64 v[8:9], s[10:11], v[14:15], v[6:7]
	s_mov_b32 s11, 0x3c91a626
	v_add_f64 v[6:7], v[6:7], -v[20:21]
	v_fma_f64 v[18:19], s[10:11], v[14:15], v[16:17]
	v_add_f64 v[6:7], v[6:7], v[16:17]
	v_add_f64 v[16:17], v[20:21], -v[8:9]
	v_add_f64 v[6:7], v[16:17], v[6:7]
	s_mov_b32 s10, 0x252049c0
	v_add_f64 v[16:17], v[6:7], -v[18:19]
	s_mov_b32 s11, 0xb97b839a
	v_fmac_f64_e32 v[16:17], s[10:11], v[14:15]
	v_add_f64 v[6:7], v[8:9], v[16:17]
	v_add_f64 v[8:9], v[6:7], -v[8:9]
	v_add_f64 v[8:9], v[16:17], -v[8:9]
	v_cvt_i32_f64_e32 v13, v[14:15]
.LBB36_48:
	s_or_b64 exec, exec, s[0:1]
	s_mov_b32 s0, 0x652b82fe
	s_mov_b32 s1, 0x3ff71547
	v_mul_f64 v[14:15], v[10:11], s[0:1]
	s_mov_b32 s0, 0xfefa39ef
	v_rndne_f64_e32 v[14:15], v[14:15]
	s_mov_b32 s1, 0xbfe62e42
	v_fma_f64 v[16:17], s[0:1], v[14:15], v[10:11]
	s_mov_b32 s0, 0x3b39803f
	s_mov_b32 s1, 0xbc7abc9e
	v_fmac_f64_e32 v[16:17], s[0:1], v[14:15]
	s_mov_b32 s0, 0x6a5dcb37
	v_mov_b32_e32 v18, 0xfca7ab0c
	v_mov_b32_e32 v19, 0x3e928af3
	s_mov_b32 s1, 0x3e5ade15
	v_fmac_f64_e32 v[18:19], s[0:1], v[16:17]
	v_mov_b32_e32 v20, 0x623fde64
	v_mov_b32_e32 v21, 0x3ec71dee
	v_fmac_f64_e32 v[20:21], v[16:17], v[18:19]
	v_mov_b32_e32 v18, 0x7c89e6b0
	v_mov_b32_e32 v19, 0x3efa0199
	;; [unrolled: 3-line block ×8, first 2 shown]
	v_fmac_f64_e32 v[18:19], v[16:17], v[20:21]
	s_mov_b32 s0, 0
	v_fma_f64 v[18:19], v[16:17], v[18:19], 1.0
	s_mov_b32 s1, 0x40900000
	v_fma_f64 v[16:17], v[16:17], v[18:19], 1.0
	v_cvt_i32_f64_e32 v14, v[14:15]
	v_cmp_nlt_f64_e32 vcc, s[0:1], v[10:11]
	s_mov_b32 s0, 0
	v_ldexp_f64 v[14:15], v[16:17], v14
	v_mov_b32_e32 v16, 0x7ff00000
	s_mov_b32 s1, 0xc090cc00
	v_cndmask_b32_e32 v15, v16, v15, vcc
	v_cmp_ngt_f64_e64 s[0:1], s[0:1], v[10:11]
	s_and_b64 vcc, s[0:1], vcc
	s_mov_b32 s14, 0x46cc5e42
	v_cndmask_b32_e64 v11, 0, v15, s[0:1]
	s_mov_b32 s0, 0x9037ab78
	s_mov_b32 s1, 0x3e21eeb6
	v_cndmask_b32_e32 v10, 0, v14, vcc
	v_mul_f64 v[14:15], v[0:1], v[0:1]
	s_mov_b32 s15, 0xbda907db
	v_mov_b64_e32 v[22:23], s[0:1]
	s_mov_b32 s0, 0xa17f65f6
	v_mul_f64 v[16:17], v[14:15], 0.5
	v_fma_f64 v[24:25], s[14:15], v[14:15], v[22:23]
	s_mov_b32 s1, 0xbe927e4f
	s_mov_b32 s16, 0x19f4ec90
	v_add_f64 v[18:19], -v[16:17], 1.0
	v_fma_f64 v[24:25], v[14:15], v[24:25], s[0:1]
	s_mov_b32 s17, 0x3efa01a0
	s_mov_b32 s18, 0x16c16967
	;; [unrolled: 1-line block ×3, first 2 shown]
	v_add_f64 v[20:21], -v[18:19], 1.0
	v_fma_f64 v[24:25], v[14:15], v[24:25], s[16:17]
	s_mov_b32 s19, 0xbf56c16c
	s_mov_b32 s13, 0x3fa55555
	v_add_f64 v[16:17], v[20:21], -v[16:17]
	v_fma_f64 v[24:25], v[14:15], v[24:25], s[18:19]
	v_mul_f64 v[20:21], v[14:15], v[14:15]
	v_fma_f64 v[24:25], v[14:15], v[24:25], s[12:13]
	v_fma_f64 v[16:17], v[0:1], -v[4:5], v[16:17]
	s_mov_b32 s20, 0xb42fdfa7
	v_fmac_f64_e32 v[16:17], v[20:21], v[24:25]
	s_mov_b32 s21, 0xbe5ae600
	s_mov_b32 s22, 0xf9a43bb8
	v_add_f64 v[16:17], v[18:19], v[16:17]
	s_mov_b32 s23, 0x3de5e0b2
	v_mov_b64_e32 v[18:19], s[20:21]
	s_mov_b32 s20, 0x796cde01
	v_fma_f64 v[20:21], s[22:23], v[14:15], v[18:19]
	s_mov_b32 s21, 0x3ec71de3
	s_mov_b32 s24, 0x19e83e5c
	s_mov_b32 s10, 0x11110bb3
	v_fma_f64 v[20:21], v[14:15], v[20:21], s[20:21]
	s_mov_b32 s25, 0xbf2a01a0
	s_mov_b32 s11, 0x3f811111
	v_fma_f64 v[20:21], v[14:15], v[20:21], s[24:25]
	v_fma_f64 v[20:21], v[14:15], v[20:21], s[10:11]
	v_mul_f64 v[24:25], v[0:1], -v[14:15]
	v_mul_f64 v[26:27], v[4:5], 0.5
	v_fmac_f64_e32 v[26:27], v[24:25], v[20:21]
	v_fma_f64 v[4:5], v[14:15], v[26:27], -v[4:5]
	s_mov_b32 s27, 0xbfc55555
	s_mov_b32 s26, s12
	v_fmac_f64_e32 v[4:5], s[26:27], v[24:25]
	v_add_f64 v[0:1], v[0:1], -v[4:5]
	v_and_b32_e32 v4, 1, v12
	v_xor_b32_e32 v1, 0x80000000, v1
	v_cmp_eq_u32_e32 vcc, 0, v4
	s_brev_b32 s28, 1
	v_lshlrev_b32_e32 v4, 30, v12
	v_cndmask_b32_e32 v1, v1, v17, vcc
	v_bitop3_b32 v1, v1, v4, s28 bitop3:0x78
	v_mul_f64 v[4:5], v[6:7], v[6:7]
	v_mul_f64 v[14:15], v[4:5], 0.5
	v_fmac_f64_e32 v[22:23], s[14:15], v[4:5]
	v_cndmask_b32_e32 v0, v0, v16, vcc
	v_add_f64 v[16:17], -v[14:15], 1.0
	v_fma_f64 v[22:23], v[4:5], v[22:23], s[0:1]
	v_add_f64 v[20:21], -v[16:17], 1.0
	v_fma_f64 v[22:23], v[4:5], v[22:23], s[16:17]
	v_add_f64 v[14:15], v[20:21], -v[14:15]
	v_fma_f64 v[22:23], v[4:5], v[22:23], s[18:19]
	v_mul_f64 v[20:21], v[4:5], v[4:5]
	v_fma_f64 v[22:23], v[4:5], v[22:23], s[12:13]
	v_fma_f64 v[14:15], v[6:7], -v[8:9], v[14:15]
	v_fmac_f64_e32 v[14:15], v[20:21], v[22:23]
	v_fmac_f64_e32 v[18:19], s[22:23], v[4:5]
	v_add_f64 v[14:15], v[16:17], v[14:15]
	v_fma_f64 v[16:17], v[4:5], v[18:19], s[20:21]
	v_fma_f64 v[16:17], v[4:5], v[16:17], s[24:25]
	;; [unrolled: 1-line block ×3, first 2 shown]
	v_mul_f64 v[18:19], v[6:7], -v[4:5]
	v_mul_f64 v[20:21], v[8:9], 0.5
	v_fmac_f64_e32 v[20:21], v[18:19], v[16:17]
	s_movk_i32 s29, 0x1f8
	v_fma_f64 v[4:5], v[4:5], v[20:21], -v[8:9]
	v_cmp_class_f64_e64 vcc, v[2:3], s29
	v_fmac_f64_e32 v[4:5], s[26:27], v[18:19]
	v_and_b32_e32 v2, 1, v13
	v_add_f64 v[4:5], v[6:7], -v[4:5]
	v_cmp_eq_u32_e64 s[0:1], 0, v2
	v_mov_b32_e32 v12, 0x7ff80000
	v_cndmask_b32_e32 v0, 0, v0, vcc
	v_cndmask_b32_e64 v2, v14, v4, s[0:1]
	v_cndmask_b32_e64 v4, v15, v5, s[0:1]
	v_lshlrev_b32_e32 v5, 30, v13
	v_xor_b32_e32 v3, v5, v3
	v_bitop3_b32 v3, v4, v3, s28 bitop3:0x78
	v_cndmask_b32_e32 v1, v12, v1, vcc
	v_cndmask_b32_e32 v2, 0, v2, vcc
	;; [unrolled: 1-line block ×3, first 2 shown]
	v_mul_f64 v[0:1], v[10:11], v[0:1]
	v_mul_f64 v[2:3], v[10:11], v[2:3]
                                        ; implicit-def: $vgpr10_vgpr11
.LBB36_49:
	s_andn2_saveexec_b64 s[10:11], s[2:3]
	s_cbranch_execz .LBB36_52
; %bb.50:
	s_mov_b32 s0, 0
	s_mov_b32 s1, 0x41d00000
	v_cmp_nlt_f64_e64 s[2:3], |v[2:3]|, s[0:1]
                                        ; implicit-def: $vgpr12
                                        ; implicit-def: $vgpr0_vgpr1
                                        ; implicit-def: $vgpr4_vgpr5
	s_and_saveexec_b64 s[0:1], s[2:3]
	s_xor_b64 s[12:13], exec, s[0:1]
	s_cbranch_execz .LBB36_53
; %bb.51:
	s_mov_b32 s0, 0
	s_mov_b32 s1, 0x7b000000
	s_movk_i32 s14, 0xff80
	v_and_b32_e32 v8, 0x7fffffff, v3
	v_ldexp_f64 v[6:7], |v[2:3]|, s14
	v_cmp_ge_f64_e64 vcc, |v[2:3]|, s[0:1]
	v_trig_preop_f64 v[0:1], |v[2:3]|, 0
	v_trig_preop_f64 v[4:5], |v[2:3]|, 1
	v_cndmask_b32_e32 v7, v8, v7, vcc
	v_cndmask_b32_e32 v6, v2, v6, vcc
	v_mul_f64 v[12:13], v[0:1], v[6:7]
	v_mul_f64 v[8:9], v[4:5], v[6:7]
	v_fma_f64 v[0:1], v[0:1], v[6:7], -v[12:13]
	v_add_f64 v[14:15], v[8:9], v[0:1]
	v_add_f64 v[22:23], v[14:15], -v[8:9]
	v_add_f64 v[0:1], v[0:1], -v[22:23]
	;; [unrolled: 1-line block ×4, first 2 shown]
	v_fma_f64 v[4:5], v[4:5], v[6:7], -v[8:9]
	v_trig_preop_f64 v[8:9], |v[2:3]|, 2
	v_add_f64 v[0:1], v[0:1], v[22:23]
	v_mul_f64 v[22:23], v[8:9], v[6:7]
	v_add_f64 v[24:25], v[22:23], v[4:5]
	v_add_f64 v[16:17], v[12:13], v[14:15]
	;; [unrolled: 1-line block ×3, first 2 shown]
	v_ldexp_f64 v[18:19], v[16:17], -2
	v_add_f64 v[12:13], v[16:17], -v[12:13]
	v_add_f64 v[16:17], v[26:27], -v[24:25]
	;; [unrolled: 1-line block ×5, first 2 shown]
	v_add_f64 v[0:1], v[0:1], v[16:17]
	v_add_f64 v[16:17], v[24:25], -v[22:23]
	v_add_f64 v[4:5], v[4:5], -v[16:17]
	;; [unrolled: 1-line block ×4, first 2 shown]
	v_add_f64 v[4:5], v[4:5], v[16:17]
	s_mov_b32 s0, 0
	v_fract_f64_e32 v[20:21], v[18:19]
	v_add_f64 v[0:1], v[4:5], v[0:1]
	v_fma_f64 v[4:5], v[8:9], v[6:7], -v[22:23]
	s_mov_b32 s1, 0x7ff00000
	v_add_f64 v[12:13], v[14:15], -v[12:13]
	v_add_f64 v[0:1], v[4:5], v[0:1]
	v_ldexp_f64 v[4:5], v[20:21], 2
	v_cmp_neq_f64_e64 vcc, |v[18:19]|, s[0:1]
	v_add_f64 v[14:15], v[12:13], v[26:27]
	v_mov_b32_e32 v8, 0x40100000
	v_cndmask_b32_e32 v5, 0, v5, vcc
	v_cndmask_b32_e32 v4, 0, v4, vcc
	v_add_f64 v[6:7], v[14:15], v[4:5]
	v_cmp_gt_f64_e32 vcc, 0, v[6:7]
	v_mov_b32_e32 v6, 0
	v_add_f64 v[12:13], v[14:15], -v[12:13]
	v_cndmask_b32_e32 v7, 0, v8, vcc
	v_add_f64 v[4:5], v[4:5], v[6:7]
	v_add_f64 v[8:9], v[14:15], v[4:5]
	v_cvt_i32_f64_e32 v7, v[8:9]
	v_cvt_f64_i32_e32 v[8:9], v7
	v_add_f64 v[4:5], v[4:5], -v[8:9]
	v_add_f64 v[8:9], v[14:15], v[4:5]
	v_add_f64 v[12:13], v[26:27], -v[12:13]
	v_add_f64 v[4:5], v[8:9], -v[4:5]
	v_add_f64 v[0:1], v[12:13], v[0:1]
	v_add_f64 v[4:5], v[14:15], -v[4:5]
	v_add_f64 v[0:1], v[0:1], v[4:5]
	v_cmp_le_f64_e32 vcc, 0.5, v[8:9]
	v_mov_b32_e32 v4, 0x3ff00000
	s_mov_b32 s14, 0x33145c07
	v_addc_co_u32_e64 v12, s[0:1], 0, v7, vcc
	v_cndmask_b32_e32 v7, 0, v4, vcc
	v_add_f64 v[4:5], v[8:9], -v[6:7]
	v_add_f64 v[6:7], v[4:5], v[0:1]
	s_mov_b32 s0, 0x54442d18
	v_add_f64 v[4:5], v[6:7], -v[4:5]
	s_mov_b32 s1, 0x3ff921fb
	v_add_f64 v[0:1], v[0:1], -v[4:5]
	v_mul_f64 v[4:5], v[6:7], s[0:1]
	v_fma_f64 v[8:9], v[6:7], s[0:1], -v[4:5]
	s_mov_b32 s15, 0x3c91a626
	v_fmac_f64_e32 v[8:9], s[14:15], v[6:7]
	v_fmac_f64_e32 v[8:9], s[0:1], v[0:1]
	v_add_f64 v[0:1], v[4:5], v[8:9]
	v_add_f64 v[4:5], v[0:1], -v[4:5]
	v_add_f64 v[4:5], v[8:9], -v[4:5]
	s_andn2_saveexec_b64 s[0:1], s[12:13]
	s_cbranch_execz .LBB36_55
	s_branch .LBB36_54
.LBB36_52:
	s_or_b64 exec, exec, s[10:11]
                                        ; implicit-def: $vgpr10_vgpr11
                                        ; implicit-def: $vgpr4
	s_andn2_saveexec_b64 s[2:3], s[8:9]
	s_cbranch_execnz .LBB36_61
	s_branch .LBB36_66
.LBB36_53:
	s_andn2_saveexec_b64 s[0:1], s[12:13]
	s_cbranch_execz .LBB36_55
.LBB36_54:
	s_mov_b32 s12, 0x6dc9c883
	s_mov_b32 s13, 0x3fe45f30
	v_mul_f64 v[0:1], |v[2:3]|, s[12:13]
	s_mov_b32 s12, 0x54442d18
	v_rndne_f64_e32 v[6:7], v[0:1]
	s_mov_b32 s13, 0xbff921fb
	v_fma_f64 v[0:1], v[6:7], s[12:13], |v[2:3]|
	s_mov_b32 s13, 0xbc91a626
	s_mov_b32 s12, 0x33145c00
	v_mul_f64 v[8:9], v[6:7], s[12:13]
	v_add_f64 v[14:15], v[0:1], v[8:9]
	v_fma_f64 v[4:5], s[12:13], v[6:7], v[0:1]
	s_mov_b32 s13, 0x3c91a626
	v_add_f64 v[0:1], v[0:1], -v[14:15]
	v_fma_f64 v[12:13], s[12:13], v[6:7], v[8:9]
	v_add_f64 v[0:1], v[0:1], v[8:9]
	v_add_f64 v[8:9], v[14:15], -v[4:5]
	v_add_f64 v[0:1], v[8:9], v[0:1]
	s_mov_b32 s12, 0x252049c0
	v_add_f64 v[8:9], v[0:1], -v[12:13]
	s_mov_b32 s13, 0xb97b839a
	v_fmac_f64_e32 v[8:9], s[12:13], v[6:7]
	v_add_f64 v[0:1], v[4:5], v[8:9]
	v_add_f64 v[4:5], v[0:1], -v[4:5]
	v_add_f64 v[4:5], v[8:9], -v[4:5]
	v_cvt_i32_f64_e32 v12, v[6:7]
.LBB36_55:
	s_or_b64 exec, exec, s[0:1]
                                        ; implicit-def: $vgpr13
                                        ; implicit-def: $vgpr6_vgpr7
                                        ; implicit-def: $vgpr8_vgpr9
	s_and_saveexec_b64 s[0:1], s[2:3]
	s_xor_b64 s[2:3], exec, s[0:1]
	s_cbranch_execz .LBB36_57
; %bb.56:
	s_mov_b32 s0, 0
	s_mov_b32 s1, 0x7b000000
	s_movk_i32 s12, 0xff80
	v_and_b32_e32 v13, 0x7fffffff, v3
	v_ldexp_f64 v[14:15], |v[2:3]|, s12
	v_cmp_ge_f64_e64 vcc, |v[2:3]|, s[0:1]
	v_trig_preop_f64 v[6:7], |v[2:3]|, 0
	v_trig_preop_f64 v[8:9], |v[2:3]|, 1
	v_cndmask_b32_e32 v15, v13, v15, vcc
	v_cndmask_b32_e32 v14, v2, v14, vcc
	v_mul_f64 v[18:19], v[6:7], v[14:15]
	v_mul_f64 v[16:17], v[8:9], v[14:15]
	v_fma_f64 v[6:7], v[6:7], v[14:15], -v[18:19]
	v_add_f64 v[20:21], v[16:17], v[6:7]
	v_add_f64 v[28:29], v[20:21], -v[16:17]
	v_add_f64 v[6:7], v[6:7], -v[28:29]
	;; [unrolled: 1-line block ×4, first 2 shown]
	v_fma_f64 v[8:9], v[8:9], v[14:15], -v[16:17]
	v_trig_preop_f64 v[16:17], |v[2:3]|, 2
	v_add_f64 v[6:7], v[6:7], v[28:29]
	v_mul_f64 v[28:29], v[16:17], v[14:15]
	v_add_f64 v[30:31], v[28:29], v[8:9]
	v_add_f64 v[22:23], v[18:19], v[20:21]
	;; [unrolled: 1-line block ×3, first 2 shown]
	v_ldexp_f64 v[24:25], v[22:23], -2
	v_add_f64 v[18:19], v[22:23], -v[18:19]
	v_add_f64 v[22:23], v[32:33], -v[30:31]
	;; [unrolled: 1-line block ×5, first 2 shown]
	v_add_f64 v[6:7], v[6:7], v[22:23]
	v_add_f64 v[22:23], v[30:31], -v[28:29]
	v_add_f64 v[8:9], v[8:9], -v[22:23]
	;; [unrolled: 1-line block ×4, first 2 shown]
	v_add_f64 v[8:9], v[8:9], v[22:23]
	s_mov_b32 s0, 0
	v_fract_f64_e32 v[26:27], v[24:25]
	v_add_f64 v[6:7], v[8:9], v[6:7]
	v_fma_f64 v[8:9], v[16:17], v[14:15], -v[28:29]
	s_mov_b32 s1, 0x7ff00000
	v_add_f64 v[18:19], v[20:21], -v[18:19]
	v_add_f64 v[6:7], v[8:9], v[6:7]
	v_ldexp_f64 v[8:9], v[26:27], 2
	v_cmp_neq_f64_e64 vcc, |v[24:25]|, s[0:1]
	v_add_f64 v[20:21], v[18:19], v[32:33]
	v_mov_b32_e32 v13, 0x40100000
	v_cndmask_b32_e32 v9, 0, v9, vcc
	v_cndmask_b32_e32 v8, 0, v8, vcc
	v_add_f64 v[14:15], v[20:21], v[8:9]
	v_cmp_gt_f64_e32 vcc, 0, v[14:15]
	v_mov_b32_e32 v14, 0
	v_add_f64 v[18:19], v[20:21], -v[18:19]
	v_cndmask_b32_e32 v15, 0, v13, vcc
	v_add_f64 v[8:9], v[8:9], v[14:15]
	v_add_f64 v[16:17], v[20:21], v[8:9]
	v_cvt_i32_f64_e32 v13, v[16:17]
	v_cvt_f64_i32_e32 v[16:17], v13
	v_add_f64 v[8:9], v[8:9], -v[16:17]
	v_add_f64 v[16:17], v[20:21], v[8:9]
	v_add_f64 v[18:19], v[32:33], -v[18:19]
	v_add_f64 v[8:9], v[16:17], -v[8:9]
	v_add_f64 v[6:7], v[18:19], v[6:7]
	v_add_f64 v[8:9], v[20:21], -v[8:9]
	v_add_f64 v[6:7], v[6:7], v[8:9]
	v_cmp_le_f64_e32 vcc, 0.5, v[16:17]
	v_mov_b32_e32 v8, 0x3ff00000
	s_mov_b32 s12, 0x33145c07
	v_cndmask_b32_e32 v15, 0, v8, vcc
	v_addc_co_u32_e64 v13, s[0:1], 0, v13, vcc
	v_add_f64 v[8:9], v[16:17], -v[14:15]
	v_add_f64 v[14:15], v[8:9], v[6:7]
	s_mov_b32 s0, 0x54442d18
	v_add_f64 v[8:9], v[14:15], -v[8:9]
	s_mov_b32 s1, 0x3ff921fb
	v_add_f64 v[6:7], v[6:7], -v[8:9]
	v_mul_f64 v[8:9], v[14:15], s[0:1]
	v_fma_f64 v[16:17], v[14:15], s[0:1], -v[8:9]
	s_mov_b32 s13, 0x3c91a626
	v_fmac_f64_e32 v[16:17], s[12:13], v[14:15]
	v_fmac_f64_e32 v[16:17], s[0:1], v[6:7]
	v_add_f64 v[6:7], v[8:9], v[16:17]
	v_add_f64 v[8:9], v[6:7], -v[8:9]
	v_add_f64 v[8:9], v[16:17], -v[8:9]
	s_andn2_saveexec_b64 s[0:1], s[2:3]
	s_cbranch_execnz .LBB36_58
	s_branch .LBB36_59
.LBB36_57:
	s_andn2_saveexec_b64 s[0:1], s[2:3]
	s_cbranch_execz .LBB36_59
.LBB36_58:
	s_mov_b32 s2, 0x6dc9c883
	s_mov_b32 s3, 0x3fe45f30
	v_mul_f64 v[6:7], |v[2:3]|, s[2:3]
	s_mov_b32 s2, 0x54442d18
	v_rndne_f64_e32 v[14:15], v[6:7]
	s_mov_b32 s3, 0xbff921fb
	v_fma_f64 v[6:7], v[14:15], s[2:3], |v[2:3]|
	s_mov_b32 s3, 0xbc91a626
	s_mov_b32 s2, 0x33145c00
	v_mul_f64 v[16:17], v[14:15], s[2:3]
	v_add_f64 v[20:21], v[6:7], v[16:17]
	v_fma_f64 v[8:9], s[2:3], v[14:15], v[6:7]
	s_mov_b32 s3, 0x3c91a626
	v_add_f64 v[6:7], v[6:7], -v[20:21]
	v_fma_f64 v[18:19], s[2:3], v[14:15], v[16:17]
	v_add_f64 v[6:7], v[6:7], v[16:17]
	v_add_f64 v[16:17], v[20:21], -v[8:9]
	v_add_f64 v[6:7], v[16:17], v[6:7]
	s_mov_b32 s2, 0x252049c0
	v_add_f64 v[16:17], v[6:7], -v[18:19]
	s_mov_b32 s3, 0xb97b839a
	v_fmac_f64_e32 v[16:17], s[2:3], v[14:15]
	v_add_f64 v[6:7], v[8:9], v[16:17]
	v_add_f64 v[8:9], v[6:7], -v[8:9]
	v_add_f64 v[8:9], v[16:17], -v[8:9]
	v_cvt_i32_f64_e32 v13, v[14:15]
.LBB36_59:
	s_or_b64 exec, exec, s[0:1]
	s_mov_b32 s0, 0x9037ab78
	s_mov_b32 s1, 0x3e21eeb6
	;; [unrolled: 1-line block ×3, first 2 shown]
	v_mul_f64 v[14:15], v[0:1], v[0:1]
	s_mov_b32 s13, 0xbda907db
	v_mov_b64_e32 v[22:23], s[0:1]
	s_mov_b32 s14, 0xa17f65f6
	v_mul_f64 v[16:17], v[14:15], 0.5
	v_fma_f64 v[24:25], s[12:13], v[14:15], v[22:23]
	s_mov_b32 s15, 0xbe927e4f
	s_mov_b32 s16, 0x19f4ec90
	v_add_f64 v[18:19], -v[16:17], 1.0
	v_fma_f64 v[24:25], v[14:15], v[24:25], s[14:15]
	s_mov_b32 s17, 0x3efa01a0
	s_mov_b32 s18, 0x16c16967
	v_fma_f64 v[24:25], v[14:15], v[24:25], s[16:17]
	s_mov_b32 s19, 0xbf56c16c
	s_mov_b32 s20, 0x55555555
	v_add_f64 v[26:27], -v[18:19], 1.0
	v_fma_f64 v[24:25], v[14:15], v[24:25], s[18:19]
	s_mov_b32 s21, 0x3fa55555
	v_add_f64 v[16:17], v[26:27], -v[16:17]
	s_mov_b32 s0, 0xb42fdfa7
	v_mul_f64 v[20:21], v[14:15], v[14:15]
	v_fma_f64 v[24:25], v[14:15], v[24:25], s[20:21]
	v_fma_f64 v[16:17], v[0:1], -v[4:5], v[16:17]
	s_mov_b32 s1, 0xbe5ae600
	s_mov_b32 s22, 0xf9a43bb8
	v_fmac_f64_e32 v[16:17], v[20:21], v[24:25]
	s_mov_b32 s23, 0x3de5e0b2
	v_mov_b64_e32 v[20:21], s[0:1]
	s_mov_b32 s24, 0x796cde01
	v_fma_f64 v[24:25], s[22:23], v[14:15], v[20:21]
	s_mov_b32 s25, 0x3ec71de3
	s_mov_b32 s26, 0x19e83e5c
	v_fma_f64 v[24:25], v[14:15], v[24:25], s[24:25]
	s_mov_b32 s27, 0xbf2a01a0
	;; [unrolled: 3-line block ×3, first 2 shown]
	v_add_f64 v[16:17], v[18:19], v[16:17]
	v_mul_f64 v[18:19], v[0:1], -v[14:15]
	v_fma_f64 v[24:25], v[14:15], v[24:25], s[28:29]
	v_mul_f64 v[26:27], v[4:5], 0.5
	v_fmac_f64_e32 v[26:27], v[18:19], v[24:25]
	v_fma_f64 v[4:5], v[14:15], v[26:27], -v[4:5]
	s_mov_b32 s41, 0xbfc55555
	s_mov_b32 s40, s20
	v_fmac_f64_e32 v[4:5], s[40:41], v[18:19]
	v_and_b32_e32 v28, 1, v12
	v_add_f64 v[0:1], v[0:1], -v[4:5]
	v_xor_b32_e32 v1, 0x80000000, v1
	v_cmp_eq_u32_e32 vcc, 0, v28
	s_mov_b32 s0, 0x19ba0da4
	s_brev_b32 s42, 1
	v_cndmask_b32_e32 v1, v1, v17, vcc
	v_lshlrev_b32_e32 v4, 30, v12
	s_mov_b32 s1, 0xc0937be3
	v_bitop3_b32 v1, v1, v4, s42 bitop3:0x78
	v_add_f64 v[4:5], v[10:11], s[0:1]
	s_mov_b32 s0, 0x652b82fe
	s_mov_b32 s1, 0x3ff71547
	v_mul_f64 v[10:11], v[4:5], s[0:1]
	s_mov_b32 s0, 0xfefa39ef
	v_rndne_f64_e32 v[10:11], v[10:11]
	s_mov_b32 s1, 0xbfe62e42
	v_fma_f64 v[14:15], s[0:1], v[10:11], v[4:5]
	s_mov_b32 s0, 0x3b39803f
	s_mov_b32 s1, 0xbc7abc9e
	v_fmac_f64_e32 v[14:15], s[0:1], v[10:11]
	s_mov_b32 s0, 0x6a5dcb37
	v_cndmask_b32_e32 v0, v0, v16, vcc
	v_mov_b32_e32 v16, 0xfca7ab0c
	v_mov_b32_e32 v17, 0x3e928af3
	s_mov_b32 s1, 0x3e5ade15
	v_fmac_f64_e32 v[16:17], s[0:1], v[14:15]
	v_mov_b32_e32 v18, 0x623fde64
	v_mov_b32_e32 v19, 0x3ec71dee
	v_fmac_f64_e32 v[18:19], v[14:15], v[16:17]
	v_mov_b32_e32 v16, 0x7c89e6b0
	v_mov_b32_e32 v17, 0x3efa0199
	v_fmac_f64_e32 v[16:17], v[14:15], v[18:19]
	v_mov_b32_e32 v18, 0x14761f6e
	v_mov_b32_e32 v19, 0x3f2a01a0
	v_fmac_f64_e32 v[18:19], v[14:15], v[16:17]
	v_mov_b32_e32 v16, 0x1852b7b0
	v_mov_b32_e32 v17, 0x3f56c16c
	v_fmac_f64_e32 v[16:17], v[14:15], v[18:19]
	v_mov_b32_e32 v18, 0x11122322
	v_mov_b32_e32 v19, 0x3f811111
	v_fmac_f64_e32 v[18:19], v[14:15], v[16:17]
	v_mov_b32_e32 v16, 0x555502a1
	v_mov_b32_e32 v17, 0x3fa55555
	v_fmac_f64_e32 v[16:17], v[14:15], v[18:19]
	v_mov_b32_e32 v18, 0x55555511
	v_mov_b32_e32 v19, 0x3fc55555
	v_fmac_f64_e32 v[18:19], v[14:15], v[16:17]
	v_mov_b32_e32 v16, 11
	v_mov_b32_e32 v17, 0x3fe00000
	v_fmac_f64_e32 v[16:17], v[14:15], v[18:19]
	s_movk_i32 s2, 0x1f8
	v_fma_f64 v[16:17], v[14:15], v[16:17], 1.0
	s_mov_b32 s0, 0
	v_cmp_class_f64_e64 vcc, v[2:3], s2
	v_fma_f64 v[14:15], v[14:15], v[16:17], 1.0
	v_cvt_i32_f64_e32 v2, v[10:11]
	s_mov_b32 s1, 0x40900000
	s_mov_b32 s2, 0
	v_ldexp_f64 v[10:11], v[14:15], v2
	v_mov_b32_e32 v2, 0x7ff00000
	v_cmp_nlt_f64_e64 s[0:1], s[0:1], v[4:5]
	s_mov_b32 s3, 0xc090cc00
	v_mul_f64 v[16:17], v[6:7], v[6:7]
	v_cndmask_b32_e64 v2, v2, v11, s[0:1]
	v_cmp_ngt_f64_e64 s[2:3], s[2:3], v[4:5]
	v_mul_f64 v[18:19], v[16:17], 0.5
	v_fmac_f64_e32 v[22:23], s[12:13], v[16:17]
	v_cndmask_b32_e64 v2, 0, v2, s[2:3]
	v_add_f64 v[24:25], -v[18:19], 1.0
	v_fma_f64 v[22:23], v[16:17], v[22:23], s[14:15]
	v_and_b32_e32 v5, 0xfffff, v2
	v_lshrrev_b32_e32 v2, 20, v2
	v_add_f64 v[26:27], -v[24:25], 1.0
	v_fma_f64 v[22:23], v[16:17], v[22:23], s[16:17]
	s_and_b64 s[0:1], s[2:3], s[0:1]
	v_add_u32_e32 v2, 0xffffff09, v2
	v_add_f64 v[18:19], v[26:27], -v[18:19]
	v_fma_f64 v[22:23], v[16:17], v[22:23], s[18:19]
	v_fmac_f64_e32 v[20:21], s[22:23], v[16:17]
	v_cndmask_b32_e64 v4, 0, v10, s[0:1]
	v_lshrrev_b16_e32 v10, 15, v2
	v_mul_f64 v[26:27], v[16:17], v[16:17]
	v_fma_f64 v[22:23], v[16:17], v[22:23], s[20:21]
	v_fma_f64 v[18:19], v[6:7], -v[8:9], v[18:19]
	v_fma_f64 v[20:21], v[16:17], v[20:21], s[24:25]
	v_add_u16_e32 v10, v2, v10
	v_fmac_f64_e32 v[18:19], v[26:27], v[22:23]
	v_fma_f64 v[20:21], v[16:17], v[20:21], s[26:27]
	v_ashrrev_i16_e32 v10, 1, v10
	v_add_f64 v[18:19], v[24:25], v[18:19]
	v_fma_f64 v[20:21], v[16:17], v[20:21], s[28:29]
	v_mul_f64 v[22:23], v[6:7], -v[16:17]
	v_mul_f64 v[24:25], v[8:9], 0.5
	v_bfe_i32 v14, v10, 0, 16
	v_fmac_f64_e32 v[24:25], v[22:23], v[20:21]
	v_mov_b32_e32 v15, 0x3ff00000
	v_sub_u32_e32 v2, v2, v14
	v_fma_f64 v[8:9], v[16:17], v[24:25], -v[8:9]
	v_lshl_add_u32 v11, v14, 20, v15
	v_lshl_add_u32 v15, v2, 20, v15
	v_fmac_f64_e32 v[8:9], s[40:41], v[22:23]
	v_and_b32_e32 v2, 1, v13
	v_add_f64 v[6:7], v[6:7], -v[8:9]
	v_cmp_eq_u32_e64 s[0:1], 0, v2
	v_mov_b32_e32 v12, 0x7ff80000
	v_cndmask_b32_e32 v0, 0, v0, vcc
	v_cndmask_b32_e64 v2, v18, v6, s[0:1]
	v_cndmask_b32_e64 v6, v19, v7, s[0:1]
	v_lshlrev_b32_e32 v7, 30, v13
	v_xor_b32_e32 v3, v7, v3
	v_bitop3_b32 v3, v6, v3, s42 bitop3:0x78
	v_cndmask_b32_e32 v1, v12, v1, vcc
	v_or_b32_e32 v5, 0x7fe00000, v5
	v_cndmask_b32_e32 v2, 0, v2, vcc
	v_cndmask_b32_e32 v3, v12, v3, vcc
	v_mul_f64 v[0:1], v[4:5], v[0:1]
	v_mov_b32_e32 v10, 0
	v_mul_f64 v[2:3], v[4:5], v[2:3]
	v_mul_f64 v[0:1], v[0:1], v[10:11]
	v_mov_b32_e32 v14, v10
	v_mul_f64 v[2:3], v[2:3], v[10:11]
	v_mul_f64 v[0:1], v[0:1], v[14:15]
	;; [unrolled: 1-line block ×3, first 2 shown]
	s_or_b64 exec, exec, s[10:11]
                                        ; implicit-def: $vgpr10_vgpr11
                                        ; implicit-def: $vgpr4
.LBB36_60:
	s_andn2_saveexec_b64 s[2:3], s[8:9]
	s_cbranch_execz .LBB36_66
.LBB36_61:
	s_mov_b32 s0, 0x7ff00000
	v_cmp_ne_u32_e32 vcc, 0, v10
	v_cmp_ne_u32_e64 s[0:1], s0, v4
	s_or_b64 s[0:1], vcc, s[0:1]
	v_add_f64 v[2:3], v[2:3], -v[2:3]
	s_and_saveexec_b64 s[8:9], s[0:1]
	s_xor_b64 s[0:1], exec, s[8:9]
; %bb.62:
                                        ; implicit-def: $vgpr10_vgpr11
; %bb.63:
	s_or_saveexec_b64 s[0:1], s[0:1]
	v_mov_b64_e32 v[0:1], v[2:3]
	s_xor_b64 exec, exec, s[0:1]
; %bb.64:
	v_cmp_lt_i64_e32 vcc, -1, v[10:11]
	s_nop 1
	v_cndmask_b32_e32 v1, 0, v11, vcc
	v_cndmask_b32_e32 v0, 0, v10, vcc
	;; [unrolled: 1-line block ×4, first 2 shown]
; %bb.65:
	s_or_b64 exec, exec, s[0:1]
.LBB36_66:
	s_or_b64 exec, exec, s[2:3]
.LBB36_67:
	s_andn2_saveexec_b64 s[2:3], s[6:7]
	s_cbranch_execz .LBB36_77
; %bb.68:
	s_mov_b32 s0, 0
	s_mov_b32 s1, 0x41d00000
	v_cmp_nlt_f64_e64 s[6:7], |v[2:3]|, s[0:1]
	v_trig_preop_f64 v[10:11], |v[2:3]|, 0
	v_trig_preop_f64 v[8:9], |v[2:3]|, 1
	;; [unrolled: 1-line block ×3, first 2 shown]
                                        ; implicit-def: $vgpr16
                                        ; implicit-def: $vgpr0_vgpr1
                                        ; implicit-def: $vgpr4_vgpr5
	s_and_saveexec_b64 s[0:1], s[6:7]
	s_xor_b64 s[8:9], exec, s[0:1]
	s_cbranch_execz .LBB36_70
; %bb.69:
	s_mov_b32 s0, 0
	s_mov_b32 s1, 0x7b000000
	s_movk_i32 s10, 0xff80
	v_and_b32_e32 v4, 0x7fffffff, v3
	v_ldexp_f64 v[0:1], |v[2:3]|, s10
	v_cmp_ge_f64_e64 vcc, |v[2:3]|, s[0:1]
	s_mov_b32 s0, 0
	s_mov_b32 s1, 0x7ff00000
	v_cndmask_b32_e32 v1, v4, v1, vcc
	v_cndmask_b32_e32 v0, v2, v0, vcc
	v_mul_f64 v[12:13], v[10:11], v[0:1]
	v_mul_f64 v[4:5], v[8:9], v[0:1]
	v_fma_f64 v[14:15], v[10:11], v[0:1], -v[12:13]
	v_add_f64 v[16:17], v[4:5], v[14:15]
	v_add_f64 v[24:25], v[16:17], -v[4:5]
	v_add_f64 v[14:15], v[14:15], -v[24:25]
	;; [unrolled: 1-line block ×4, first 2 shown]
	v_add_f64 v[14:15], v[14:15], v[24:25]
	v_fma_f64 v[4:5], v[8:9], v[0:1], -v[4:5]
	v_mul_f64 v[24:25], v[6:7], v[0:1]
	v_add_f64 v[26:27], v[24:25], v[4:5]
	v_add_f64 v[18:19], v[12:13], v[16:17]
	;; [unrolled: 1-line block ×3, first 2 shown]
	v_ldexp_f64 v[20:21], v[18:19], -2
	v_add_f64 v[12:13], v[18:19], -v[12:13]
	v_add_f64 v[18:19], v[28:29], -v[26:27]
	;; [unrolled: 1-line block ×5, first 2 shown]
	v_add_f64 v[14:15], v[14:15], v[18:19]
	v_add_f64 v[18:19], v[26:27], -v[24:25]
	v_add_f64 v[4:5], v[4:5], -v[18:19]
	;; [unrolled: 1-line block ×5, first 2 shown]
	v_add_f64 v[4:5], v[4:5], v[18:19]
	v_fract_f64_e32 v[22:23], v[20:21]
	v_add_f64 v[16:17], v[12:13], v[28:29]
	v_add_f64 v[4:5], v[4:5], v[14:15]
	v_fma_f64 v[0:1], v[6:7], v[0:1], -v[24:25]
	v_add_f64 v[12:13], v[16:17], -v[12:13]
	v_add_f64 v[0:1], v[0:1], v[4:5]
	v_ldexp_f64 v[4:5], v[22:23], 2
	v_cmp_neq_f64_e64 vcc, |v[20:21]|, s[0:1]
	v_add_f64 v[12:13], v[28:29], -v[12:13]
	v_add_f64 v[0:1], v[12:13], v[0:1]
	v_cndmask_b32_e32 v5, 0, v5, vcc
	v_cndmask_b32_e32 v4, 0, v4, vcc
	v_add_f64 v[12:13], v[16:17], v[4:5]
	v_mov_b32_e32 v14, 0x40100000
	v_cmp_gt_f64_e32 vcc, 0, v[12:13]
	v_mov_b32_e32 v12, 0
	s_mov_b32 s10, 0x33145c07
	v_cndmask_b32_e32 v13, 0, v14, vcc
	v_add_f64 v[4:5], v[4:5], v[12:13]
	v_add_f64 v[14:15], v[16:17], v[4:5]
	v_cvt_i32_f64_e32 v13, v[14:15]
	v_cvt_f64_i32_e32 v[14:15], v13
	v_add_f64 v[4:5], v[4:5], -v[14:15]
	v_add_f64 v[14:15], v[16:17], v[4:5]
	v_add_f64 v[4:5], v[14:15], -v[4:5]
	v_add_f64 v[4:5], v[16:17], -v[4:5]
	v_add_f64 v[0:1], v[0:1], v[4:5]
	v_cmp_le_f64_e32 vcc, 0.5, v[14:15]
	v_mov_b32_e32 v4, 0x3ff00000
	s_mov_b32 s11, 0x3c91a626
	v_addc_co_u32_e64 v16, s[0:1], 0, v13, vcc
	v_cndmask_b32_e32 v13, 0, v4, vcc
	v_add_f64 v[4:5], v[14:15], -v[12:13]
	v_add_f64 v[12:13], v[4:5], v[0:1]
	s_mov_b32 s0, 0x54442d18
	v_add_f64 v[4:5], v[12:13], -v[4:5]
	s_mov_b32 s1, 0x3ff921fb
	v_add_f64 v[0:1], v[0:1], -v[4:5]
	v_mul_f64 v[4:5], v[12:13], s[0:1]
	v_fma_f64 v[14:15], v[12:13], s[0:1], -v[4:5]
	v_fmac_f64_e32 v[14:15], s[10:11], v[12:13]
	v_fmac_f64_e32 v[14:15], s[0:1], v[0:1]
	v_add_f64 v[0:1], v[4:5], v[14:15]
	v_add_f64 v[4:5], v[0:1], -v[4:5]
	v_add_f64 v[4:5], v[14:15], -v[4:5]
	s_andn2_saveexec_b64 s[0:1], s[8:9]
	s_cbranch_execz .LBB36_72
	s_branch .LBB36_71
.LBB36_70:
	s_andn2_saveexec_b64 s[0:1], s[8:9]
	s_cbranch_execz .LBB36_72
.LBB36_71:
	s_mov_b32 s8, 0x6dc9c883
	s_mov_b32 s9, 0x3fe45f30
	v_mul_f64 v[0:1], |v[2:3]|, s[8:9]
	s_mov_b32 s8, 0x54442d18
	v_rndne_f64_e32 v[12:13], v[0:1]
	s_mov_b32 s9, 0xbff921fb
	v_fma_f64 v[0:1], v[12:13], s[8:9], |v[2:3]|
	s_mov_b32 s9, 0xbc91a626
	s_mov_b32 s8, 0x33145c00
	v_mul_f64 v[14:15], v[12:13], s[8:9]
	v_add_f64 v[18:19], v[0:1], v[14:15]
	v_fma_f64 v[4:5], s[8:9], v[12:13], v[0:1]
	s_mov_b32 s9, 0x3c91a626
	v_add_f64 v[0:1], v[0:1], -v[18:19]
	v_fma_f64 v[16:17], s[8:9], v[12:13], v[14:15]
	v_add_f64 v[0:1], v[0:1], v[14:15]
	v_add_f64 v[14:15], v[18:19], -v[4:5]
	v_add_f64 v[0:1], v[14:15], v[0:1]
	s_mov_b32 s8, 0x252049c0
	v_add_f64 v[14:15], v[0:1], -v[16:17]
	s_mov_b32 s9, 0xb97b839a
	v_fmac_f64_e32 v[14:15], s[8:9], v[12:13]
	v_add_f64 v[0:1], v[4:5], v[14:15]
	v_add_f64 v[4:5], v[0:1], -v[4:5]
	v_add_f64 v[4:5], v[14:15], -v[4:5]
	v_cvt_i32_f64_e32 v16, v[12:13]
.LBB36_72:
	s_or_b64 exec, exec, s[0:1]
                                        ; implicit-def: $vgpr17
                                        ; implicit-def: $vgpr12_vgpr13
                                        ; implicit-def: $vgpr14_vgpr15
	s_and_saveexec_b64 s[0:1], s[6:7]
	s_xor_b64 s[6:7], exec, s[0:1]
	s_cbranch_execz .LBB36_74
; %bb.73:
	s_mov_b32 s0, 0
	s_mov_b32 s1, 0x7b000000
	s_movk_i32 s8, 0xff80
	v_and_b32_e32 v14, 0x7fffffff, v3
	v_ldexp_f64 v[12:13], |v[2:3]|, s8
	v_cmp_ge_f64_e64 vcc, |v[2:3]|, s[0:1]
	s_mov_b32 s0, 0
	s_mov_b32 s1, 0x7ff00000
	v_cndmask_b32_e32 v13, v14, v13, vcc
	v_cndmask_b32_e32 v12, v2, v12, vcc
	v_mul_f64 v[18:19], v[10:11], v[12:13]
	v_mul_f64 v[14:15], v[8:9], v[12:13]
	v_fma_f64 v[10:11], v[10:11], v[12:13], -v[18:19]
	v_add_f64 v[20:21], v[14:15], v[10:11]
	v_add_f64 v[28:29], v[20:21], -v[14:15]
	v_add_f64 v[10:11], v[10:11], -v[28:29]
	;; [unrolled: 1-line block ×4, first 2 shown]
	v_fma_f64 v[8:9], v[8:9], v[12:13], -v[14:15]
	v_mul_f64 v[14:15], v[6:7], v[12:13]
	v_add_f64 v[10:11], v[10:11], v[28:29]
	v_add_f64 v[28:29], v[14:15], v[8:9]
	v_add_f64 v[22:23], v[18:19], v[20:21]
	v_add_f64 v[30:31], v[28:29], v[10:11]
	v_ldexp_f64 v[24:25], v[22:23], -2
	v_add_f64 v[18:19], v[22:23], -v[18:19]
	v_add_f64 v[22:23], v[30:31], -v[28:29]
	;; [unrolled: 1-line block ×5, first 2 shown]
	v_add_f64 v[10:11], v[10:11], v[22:23]
	v_add_f64 v[22:23], v[28:29], -v[14:15]
	v_add_f64 v[8:9], v[8:9], -v[22:23]
	;; [unrolled: 1-line block ×4, first 2 shown]
	v_add_f64 v[8:9], v[8:9], v[22:23]
	v_fract_f64_e32 v[26:27], v[24:25]
	v_add_f64 v[8:9], v[8:9], v[10:11]
	v_fma_f64 v[6:7], v[6:7], v[12:13], -v[14:15]
	v_add_f64 v[18:19], v[20:21], -v[18:19]
	v_add_f64 v[6:7], v[6:7], v[8:9]
	v_ldexp_f64 v[8:9], v[26:27], 2
	v_cmp_neq_f64_e64 vcc, |v[24:25]|, s[0:1]
	v_add_f64 v[20:21], v[18:19], v[30:31]
	v_mov_b32_e32 v12, 0x40100000
	v_cndmask_b32_e32 v9, 0, v9, vcc
	v_cndmask_b32_e32 v8, 0, v8, vcc
	v_add_f64 v[10:11], v[20:21], v[8:9]
	v_cmp_gt_f64_e32 vcc, 0, v[10:11]
	v_mov_b32_e32 v10, 0
	v_add_f64 v[18:19], v[20:21], -v[18:19]
	v_cndmask_b32_e32 v11, 0, v12, vcc
	v_add_f64 v[8:9], v[8:9], v[10:11]
	v_add_f64 v[12:13], v[20:21], v[8:9]
	v_cvt_i32_f64_e32 v11, v[12:13]
	v_cvt_f64_i32_e32 v[12:13], v11
	v_add_f64 v[8:9], v[8:9], -v[12:13]
	v_add_f64 v[12:13], v[20:21], v[8:9]
	v_add_f64 v[18:19], v[30:31], -v[18:19]
	v_add_f64 v[8:9], v[12:13], -v[8:9]
	v_add_f64 v[6:7], v[18:19], v[6:7]
	v_add_f64 v[8:9], v[20:21], -v[8:9]
	v_add_f64 v[6:7], v[6:7], v[8:9]
	v_cmp_le_f64_e32 vcc, 0.5, v[12:13]
	v_mov_b32_e32 v8, 0x3ff00000
	s_mov_b32 s8, 0x33145c07
	v_addc_co_u32_e64 v17, s[0:1], 0, v11, vcc
	v_cndmask_b32_e32 v11, 0, v8, vcc
	v_add_f64 v[8:9], v[12:13], -v[10:11]
	v_add_f64 v[10:11], v[8:9], v[6:7]
	s_mov_b32 s0, 0x54442d18
	v_add_f64 v[8:9], v[10:11], -v[8:9]
	s_mov_b32 s1, 0x3ff921fb
	v_add_f64 v[6:7], v[6:7], -v[8:9]
	v_mul_f64 v[8:9], v[10:11], s[0:1]
	v_fma_f64 v[14:15], v[10:11], s[0:1], -v[8:9]
	s_mov_b32 s9, 0x3c91a626
	v_fmac_f64_e32 v[14:15], s[8:9], v[10:11]
	v_fmac_f64_e32 v[14:15], s[0:1], v[6:7]
	v_add_f64 v[12:13], v[8:9], v[14:15]
	v_add_f64 v[6:7], v[12:13], -v[8:9]
	v_add_f64 v[14:15], v[14:15], -v[6:7]
	s_andn2_saveexec_b64 s[0:1], s[6:7]
	s_cbranch_execnz .LBB36_75
	s_branch .LBB36_76
.LBB36_74:
	s_andn2_saveexec_b64 s[0:1], s[6:7]
	s_cbranch_execz .LBB36_76
.LBB36_75:
	s_mov_b32 s6, 0x6dc9c883
	s_mov_b32 s7, 0x3fe45f30
	v_mul_f64 v[6:7], |v[2:3]|, s[6:7]
	s_mov_b32 s6, 0x54442d18
	v_rndne_f64_e32 v[6:7], v[6:7]
	s_mov_b32 s7, 0xbff921fb
	v_fma_f64 v[8:9], v[6:7], s[6:7], |v[2:3]|
	s_mov_b32 s7, 0xbc91a626
	s_mov_b32 s6, 0x33145c00
	v_mul_f64 v[12:13], v[6:7], s[6:7]
	v_add_f64 v[18:19], v[8:9], v[12:13]
	v_fma_f64 v[10:11], s[6:7], v[6:7], v[8:9]
	s_mov_b32 s7, 0x3c91a626
	v_add_f64 v[8:9], v[8:9], -v[18:19]
	v_fma_f64 v[14:15], s[6:7], v[6:7], v[12:13]
	v_add_f64 v[8:9], v[8:9], v[12:13]
	v_add_f64 v[12:13], v[18:19], -v[10:11]
	v_add_f64 v[8:9], v[12:13], v[8:9]
	s_mov_b32 s6, 0x252049c0
	v_add_f64 v[8:9], v[8:9], -v[14:15]
	s_mov_b32 s7, 0xb97b839a
	v_fmac_f64_e32 v[8:9], s[6:7], v[6:7]
	v_add_f64 v[12:13], v[10:11], v[8:9]
	v_add_f64 v[10:11], v[12:13], -v[10:11]
	v_add_f64 v[14:15], v[8:9], -v[10:11]
	v_cvt_i32_f64_e32 v17, v[6:7]
.LBB36_76:
	s_or_b64 exec, exec, s[0:1]
	s_mov_b32 s6, 0x9037ab78
	s_mov_b32 s7, 0x3e21eeb6
	;; [unrolled: 1-line block ×3, first 2 shown]
	v_mul_f64 v[6:7], v[0:1], v[0:1]
	s_mov_b32 s1, 0xbda907db
	v_mov_b64_e32 v[20:21], s[6:7]
	s_mov_b32 s6, 0xa17f65f6
	v_mul_f64 v[8:9], v[6:7], 0.5
	v_fma_f64 v[22:23], s[0:1], v[6:7], v[20:21]
	s_mov_b32 s7, 0xbe927e4f
	s_mov_b32 s8, 0x19f4ec90
	v_add_f64 v[10:11], -v[8:9], 1.0
	v_fma_f64 v[22:23], v[6:7], v[22:23], s[6:7]
	s_mov_b32 s9, 0x3efa01a0
	s_mov_b32 s10, 0x16c16967
	v_add_f64 v[18:19], -v[10:11], 1.0
	v_fma_f64 v[22:23], v[6:7], v[22:23], s[8:9]
	s_mov_b32 s11, 0xbf56c16c
	s_mov_b32 s12, 0x55555555
	v_add_f64 v[8:9], v[18:19], -v[8:9]
	v_fma_f64 v[22:23], v[6:7], v[22:23], s[10:11]
	s_mov_b32 s13, 0x3fa55555
	v_mul_f64 v[18:19], v[6:7], v[6:7]
	v_fma_f64 v[22:23], v[6:7], v[22:23], s[12:13]
	v_fma_f64 v[8:9], v[0:1], -v[4:5], v[8:9]
	s_mov_b32 s14, 0xb42fdfa7
	v_fmac_f64_e32 v[8:9], v[18:19], v[22:23]
	s_mov_b32 s15, 0xbe5ae600
	s_mov_b32 s16, 0xf9a43bb8
	v_add_f64 v[8:9], v[10:11], v[8:9]
	s_mov_b32 s17, 0x3de5e0b2
	v_mov_b64_e32 v[10:11], s[14:15]
	s_mov_b32 s14, 0x796cde01
	v_fma_f64 v[18:19], s[16:17], v[6:7], v[10:11]
	s_mov_b32 s15, 0x3ec71de3
	s_mov_b32 s18, 0x19e83e5c
	v_fma_f64 v[18:19], v[6:7], v[18:19], s[14:15]
	s_mov_b32 s19, 0xbf2a01a0
	;; [unrolled: 3-line block ×3, first 2 shown]
	v_fma_f64 v[18:19], v[6:7], v[18:19], s[20:21]
	v_mul_f64 v[22:23], v[0:1], -v[6:7]
	v_mul_f64 v[24:25], v[4:5], 0.5
	v_fmac_f64_e32 v[24:25], v[22:23], v[18:19]
	v_fma_f64 v[4:5], v[6:7], v[24:25], -v[4:5]
	s_mov_b32 s23, 0xbfc55555
	s_mov_b32 s22, s12
	v_fmac_f64_e32 v[4:5], s[22:23], v[22:23]
	v_add_f64 v[0:1], v[0:1], -v[4:5]
	v_and_b32_e32 v4, 1, v16
	v_xor_b32_e32 v1, 0x80000000, v1
	v_cmp_eq_u32_e32 vcc, 0, v4
	s_brev_b32 s24, 1
	v_lshlrev_b32_e32 v4, 30, v16
	v_cndmask_b32_e32 v1, v1, v9, vcc
	v_bitop3_b32 v1, v1, v4, s24 bitop3:0x78
	v_mul_f64 v[4:5], v[12:13], v[12:13]
	v_mul_f64 v[6:7], v[4:5], 0.5
	v_fmac_f64_e32 v[20:21], s[0:1], v[4:5]
	v_cndmask_b32_e32 v0, v0, v8, vcc
	v_add_f64 v[8:9], -v[6:7], 1.0
	v_fma_f64 v[20:21], v[4:5], v[20:21], s[6:7]
	v_add_f64 v[18:19], -v[8:9], 1.0
	v_fma_f64 v[20:21], v[4:5], v[20:21], s[8:9]
	v_add_f64 v[6:7], v[18:19], -v[6:7]
	v_fma_f64 v[20:21], v[4:5], v[20:21], s[10:11]
	v_mul_f64 v[18:19], v[4:5], v[4:5]
	v_fma_f64 v[20:21], v[4:5], v[20:21], s[12:13]
	v_fma_f64 v[6:7], v[12:13], -v[14:15], v[6:7]
	v_fmac_f64_e32 v[6:7], v[18:19], v[20:21]
	v_fmac_f64_e32 v[10:11], s[16:17], v[4:5]
	v_add_f64 v[6:7], v[8:9], v[6:7]
	v_fma_f64 v[8:9], v[4:5], v[10:11], s[14:15]
	v_fma_f64 v[8:9], v[4:5], v[8:9], s[18:19]
	;; [unrolled: 1-line block ×3, first 2 shown]
	v_mul_f64 v[10:11], v[12:13], -v[4:5]
	v_mul_f64 v[18:19], v[14:15], 0.5
	v_fmac_f64_e32 v[18:19], v[10:11], v[8:9]
	s_movk_i32 s25, 0x1f8
	v_fma_f64 v[4:5], v[4:5], v[18:19], -v[14:15]
	v_cmp_class_f64_e64 vcc, v[2:3], s25
	v_fmac_f64_e32 v[4:5], s[22:23], v[10:11]
	v_and_b32_e32 v2, 1, v17
	v_add_f64 v[4:5], v[12:13], -v[4:5]
	v_cmp_eq_u32_e64 s[0:1], 0, v2
	v_mov_b32_e32 v16, 0x7ff80000
	v_cndmask_b32_e32 v0, 0, v0, vcc
	v_cndmask_b32_e64 v2, v6, v4, s[0:1]
	v_cndmask_b32_e64 v4, v7, v5, s[0:1]
	v_lshlrev_b32_e32 v5, 30, v17
	v_xor_b32_e32 v3, v5, v3
	v_bitop3_b32 v3, v4, v3, s24 bitop3:0x78
	v_cndmask_b32_e32 v1, v16, v1, vcc
	v_cndmask_b32_e32 v2, 0, v2, vcc
	;; [unrolled: 1-line block ×3, first 2 shown]
.LBB36_77:
	s_or_b64 exec, exec, s[2:3]
                                        ; implicit-def: $vgpr10_vgpr11
	s_andn2_saveexec_b64 s[2:3], s[4:5]
	s_cbranch_execnz .LBB36_41
.LBB36_78:
	s_or_b64 exec, exec, s[2:3]
	s_setpc_b64 s[30:31]
.Lfunc_end36:
	.size	_ZN16c10_complex_math3powIdEEN3c107complexIT_EERKS4_S6_, .Lfunc_end36-_ZN16c10_complex_math3powIdEEN3c107complexIT_EERKS4_S6_
                                        ; -- End function
	.set .L_ZN16c10_complex_math3powIdEEN3c107complexIT_EERKS4_S6_.num_vgpr, 36
	.set .L_ZN16c10_complex_math3powIdEEN3c107complexIT_EERKS4_S6_.num_agpr, 0
	.set .L_ZN16c10_complex_math3powIdEEN3c107complexIT_EERKS4_S6_.numbered_sgpr, 43
	.set .L_ZN16c10_complex_math3powIdEEN3c107complexIT_EERKS4_S6_.num_named_barrier, 0
	.set .L_ZN16c10_complex_math3powIdEEN3c107complexIT_EERKS4_S6_.private_seg_size, 0
	.set .L_ZN16c10_complex_math3powIdEEN3c107complexIT_EERKS4_S6_.uses_vcc, 1
	.set .L_ZN16c10_complex_math3powIdEEN3c107complexIT_EERKS4_S6_.uses_flat_scratch, 0
	.set .L_ZN16c10_complex_math3powIdEEN3c107complexIT_EERKS4_S6_.has_dyn_sized_stack, 0
	.set .L_ZN16c10_complex_math3powIdEEN3c107complexIT_EERKS4_S6_.has_recursion, 0
	.set .L_ZN16c10_complex_math3powIdEEN3c107complexIT_EERKS4_S6_.has_indirect_call, 0
	.section	.AMDGPU.csdata,"",@progbits
; Function info:
; codeLenInByte = 21528
; TotalNumSgprs: 49
; NumVgprs: 36
; NumAgprs: 0
; TotalNumVgprs: 36
; ScratchSize: 0
; MemoryBound: 0
	.section	.text._ZN12_GLOBAL__N_141elementwise_kernel_with_index_grid_strideIiZZZN2at6native17logspace_cuda_outERKN3c106ScalarES6_ldRNS1_6TensorEENKUlvE0_clEvENKUlvE1_clEvEUllE_EEvT_T0_PN15function_traitsISD_E11result_typeE,"axG",@progbits,_ZN12_GLOBAL__N_141elementwise_kernel_with_index_grid_strideIiZZZN2at6native17logspace_cuda_outERKN3c106ScalarES6_ldRNS1_6TensorEENKUlvE0_clEvENKUlvE1_clEvEUllE_EEvT_T0_PN15function_traitsISD_E11result_typeE,comdat
	.globl	_ZN12_GLOBAL__N_141elementwise_kernel_with_index_grid_strideIiZZZN2at6native17logspace_cuda_outERKN3c106ScalarES6_ldRNS1_6TensorEENKUlvE0_clEvENKUlvE1_clEvEUllE_EEvT_T0_PN15function_traitsISD_E11result_typeE ; -- Begin function _ZN12_GLOBAL__N_141elementwise_kernel_with_index_grid_strideIiZZZN2at6native17logspace_cuda_outERKN3c106ScalarES6_ldRNS1_6TensorEENKUlvE0_clEvENKUlvE1_clEvEUllE_EEvT_T0_PN15function_traitsISD_E11result_typeE
	.p2align	8
	.type	_ZN12_GLOBAL__N_141elementwise_kernel_with_index_grid_strideIiZZZN2at6native17logspace_cuda_outERKN3c106ScalarES6_ldRNS1_6TensorEENKUlvE0_clEvENKUlvE1_clEvEUllE_EEvT_T0_PN15function_traitsISD_E11result_typeE,@function
_ZN12_GLOBAL__N_141elementwise_kernel_with_index_grid_strideIiZZZN2at6native17logspace_cuda_outERKN3c106ScalarES6_ldRNS1_6TensorEENKUlvE0_clEvENKUlvE1_clEvEUllE_EEvT_T0_PN15function_traitsISD_E11result_typeE: ; @_ZN12_GLOBAL__N_141elementwise_kernel_with_index_grid_strideIiZZZN2at6native17logspace_cuda_outERKN3c106ScalarES6_ldRNS1_6TensorEENKUlvE0_clEvENKUlvE1_clEvEUllE_EEvT_T0_PN15function_traitsISD_E11result_typeE
; %bb.0:
	s_load_dword s3, s[0:1], 0x84
	s_load_dword s33, s[0:1], 0x0
	s_add_u32 s4, s0, 0x78
	s_addc_u32 s5, s1, 0
	s_mov_b32 s32, 0
	s_waitcnt lgkmcnt(0)
	s_and_b32 s3, s3, 0xffff
	s_mul_i32 s2, s2, s3
	v_add_u32_e32 v36, s2, v0
	v_cmp_gt_i32_e32 vcc, s33, v36
	s_and_saveexec_b64 s[6:7], vcc
	s_cbranch_execz .LBB37_7
; %bb.1:
	s_load_dwordx2 s[6:7], s[0:1], 0x70
	s_load_dword s2, s[4:5], 0x0
	s_load_dwordx8 s[44:51], s[0:1], 0x10
	s_load_dwordx8 s[52:59], s[0:1], 0x30
	s_load_dwordx2 s[34:35], s[0:1], 0x60
	s_load_dwordx4 s[36:39], s[0:1], 0x50
	v_ashrrev_i32_e32 v37, 31, v36
	s_waitcnt lgkmcnt(0)
	s_mul_i32 s58, s2, s3
	v_not_b32_e32 v1, v37
	v_not_b32_e32 v0, v36
	v_lshl_add_u64 v[38:39], v[0:1], 0, s[56:57]
	s_ashr_i32 s59, s58, 31
	v_lshl_add_u64 v[0:1], v[36:37], 4, s[6:7]
	v_lshl_add_u64 v[40:41], v[0:1], 0, 8
	s_lshl_b64 s[56:57], s[58:59], 4
	s_mov_b64 s[60:61], 0
	v_mov_b32_e32 v42, s59
	s_branch .LBB37_3
.LBB37_2:                               ;   in Loop: Header=BB37_3 Depth=1
	s_or_b64 exec, exec, s[62:63]
	v_subrev_co_u32_e32 v38, vcc, s58, v38
	v_lshl_add_u64 v[36:37], v[36:37], 0, s[58:59]
	s_nop 0
	v_subb_co_u32_e32 v39, vcc, v39, v42, vcc
	v_cmp_le_i32_e32 vcc, s33, v36
	global_store_dwordx4 v[40:41], v[0:3], off offset:-8
	s_or_b64 s[60:61], vcc, s[60:61]
	v_lshl_add_u64 v[40:41], v[40:41], 0, s[56:57]
	s_andn2_b64 exec, exec, s[60:61]
	s_cbranch_execz .LBB37_7
.LBB37_3:                               ; =>This Inner Loop Header: Depth=1
	v_cmp_le_i64_e32 vcc, s[34:35], v[36:37]
                                        ; implicit-def: $vgpr0_vgpr1
	s_and_saveexec_b64 s[0:1], vcc
	s_xor_b64 s[62:63], exec, s[0:1]
	s_cbranch_execz .LBB37_5
; %bb.4:                                ;   in Loop: Header=BB37_3 Depth=1
	v_cvt_f64_i32_e32 v[0:1], v39
	v_ldexp_f64 v[0:1], v[0:1], 32
	v_cvt_f64_u32_e32 v[2:3], v38
	v_add_f64 v[0:1], v[0:1], v[2:3]
	v_mov_b64_e32 v[2:3], s[48:49]
	v_fma_f64 v[4:5], -s[36:37], v[0:1], v[2:3]
	v_mov_b64_e32 v[2:3], s[50:51]
	v_fma_f64 v[6:7], -s[38:39], v[0:1], v[2:3]
	s_getpc_b64 s[0:1]
	s_add_u32 s0, s0, _ZN16c10_complex_math3powIdEEN3c107complexIT_EERKS4_S6_@rel32@lo+4
	s_addc_u32 s1, s1, _ZN16c10_complex_math3powIdEEN3c107complexIT_EERKS4_S6_@rel32@hi+12
	v_mov_b32_e32 v0, s52
	v_mov_b32_e32 v1, s53
	;; [unrolled: 1-line block ×4, first 2 shown]
	s_swappc_b64 s[30:31], s[0:1]
.LBB37_5:                               ;   in Loop: Header=BB37_3 Depth=1
	s_andn2_saveexec_b64 s[62:63], s[62:63]
	s_cbranch_execz .LBB37_2
; %bb.6:                                ;   in Loop: Header=BB37_3 Depth=1
	v_cvt_f64_i32_e32 v[0:1], v36
	v_mov_b64_e32 v[2:3], s[44:45]
	v_fma_f64 v[4:5], s[36:37], v[0:1], v[2:3]
	v_mov_b64_e32 v[2:3], s[46:47]
	v_fma_f64 v[6:7], s[38:39], v[0:1], v[2:3]
	s_getpc_b64 s[0:1]
	s_add_u32 s0, s0, _ZN16c10_complex_math3powIdEEN3c107complexIT_EERKS4_S6_@rel32@lo+4
	s_addc_u32 s1, s1, _ZN16c10_complex_math3powIdEEN3c107complexIT_EERKS4_S6_@rel32@hi+12
	v_mov_b32_e32 v0, s52
	v_mov_b32_e32 v1, s53
	;; [unrolled: 1-line block ×4, first 2 shown]
	s_swappc_b64 s[30:31], s[0:1]
	s_branch .LBB37_2
.LBB37_7:
	s_endpgm
	.section	.rodata,"a",@progbits
	.p2align	6, 0x0
	.amdhsa_kernel _ZN12_GLOBAL__N_141elementwise_kernel_with_index_grid_strideIiZZZN2at6native17logspace_cuda_outERKN3c106ScalarES6_ldRNS1_6TensorEENKUlvE0_clEvENKUlvE1_clEvEUllE_EEvT_T0_PN15function_traitsISD_E11result_typeE
		.amdhsa_group_segment_fixed_size 0
		.amdhsa_private_segment_fixed_size 0
		.amdhsa_kernarg_size 376
		.amdhsa_user_sgpr_count 2
		.amdhsa_user_sgpr_dispatch_ptr 0
		.amdhsa_user_sgpr_queue_ptr 0
		.amdhsa_user_sgpr_kernarg_segment_ptr 1
		.amdhsa_user_sgpr_dispatch_id 0
		.amdhsa_user_sgpr_kernarg_preload_length 0
		.amdhsa_user_sgpr_kernarg_preload_offset 0
		.amdhsa_user_sgpr_private_segment_size 0
		.amdhsa_uses_dynamic_stack 0
		.amdhsa_enable_private_segment 0
		.amdhsa_system_sgpr_workgroup_id_x 1
		.amdhsa_system_sgpr_workgroup_id_y 0
		.amdhsa_system_sgpr_workgroup_id_z 0
		.amdhsa_system_sgpr_workgroup_info 0
		.amdhsa_system_vgpr_workitem_id 0
		.amdhsa_next_free_vgpr 43
		.amdhsa_next_free_sgpr 64
		.amdhsa_accum_offset 44
		.amdhsa_reserve_vcc 1
		.amdhsa_float_round_mode_32 0
		.amdhsa_float_round_mode_16_64 0
		.amdhsa_float_denorm_mode_32 3
		.amdhsa_float_denorm_mode_16_64 3
		.amdhsa_dx10_clamp 1
		.amdhsa_ieee_mode 1
		.amdhsa_fp16_overflow 0
		.amdhsa_tg_split 0
		.amdhsa_exception_fp_ieee_invalid_op 0
		.amdhsa_exception_fp_denorm_src 0
		.amdhsa_exception_fp_ieee_div_zero 0
		.amdhsa_exception_fp_ieee_overflow 0
		.amdhsa_exception_fp_ieee_underflow 0
		.amdhsa_exception_fp_ieee_inexact 0
		.amdhsa_exception_int_div_zero 0
	.end_amdhsa_kernel
	.section	.text._ZN12_GLOBAL__N_141elementwise_kernel_with_index_grid_strideIiZZZN2at6native17logspace_cuda_outERKN3c106ScalarES6_ldRNS1_6TensorEENKUlvE0_clEvENKUlvE1_clEvEUllE_EEvT_T0_PN15function_traitsISD_E11result_typeE,"axG",@progbits,_ZN12_GLOBAL__N_141elementwise_kernel_with_index_grid_strideIiZZZN2at6native17logspace_cuda_outERKN3c106ScalarES6_ldRNS1_6TensorEENKUlvE0_clEvENKUlvE1_clEvEUllE_EEvT_T0_PN15function_traitsISD_E11result_typeE,comdat
.Lfunc_end37:
	.size	_ZN12_GLOBAL__N_141elementwise_kernel_with_index_grid_strideIiZZZN2at6native17logspace_cuda_outERKN3c106ScalarES6_ldRNS1_6TensorEENKUlvE0_clEvENKUlvE1_clEvEUllE_EEvT_T0_PN15function_traitsISD_E11result_typeE, .Lfunc_end37-_ZN12_GLOBAL__N_141elementwise_kernel_with_index_grid_strideIiZZZN2at6native17logspace_cuda_outERKN3c106ScalarES6_ldRNS1_6TensorEENKUlvE0_clEvENKUlvE1_clEvEUllE_EEvT_T0_PN15function_traitsISD_E11result_typeE
                                        ; -- End function
	.set _ZN12_GLOBAL__N_141elementwise_kernel_with_index_grid_strideIiZZZN2at6native17logspace_cuda_outERKN3c106ScalarES6_ldRNS1_6TensorEENKUlvE0_clEvENKUlvE1_clEvEUllE_EEvT_T0_PN15function_traitsISD_E11result_typeE.num_vgpr, max(43, .L_ZN16c10_complex_math3powIdEEN3c107complexIT_EERKS4_S6_.num_vgpr)
	.set _ZN12_GLOBAL__N_141elementwise_kernel_with_index_grid_strideIiZZZN2at6native17logspace_cuda_outERKN3c106ScalarES6_ldRNS1_6TensorEENKUlvE0_clEvENKUlvE1_clEvEUllE_EEvT_T0_PN15function_traitsISD_E11result_typeE.num_agpr, max(0, .L_ZN16c10_complex_math3powIdEEN3c107complexIT_EERKS4_S6_.num_agpr)
	.set _ZN12_GLOBAL__N_141elementwise_kernel_with_index_grid_strideIiZZZN2at6native17logspace_cuda_outERKN3c106ScalarES6_ldRNS1_6TensorEENKUlvE0_clEvENKUlvE1_clEvEUllE_EEvT_T0_PN15function_traitsISD_E11result_typeE.numbered_sgpr, max(64, .L_ZN16c10_complex_math3powIdEEN3c107complexIT_EERKS4_S6_.numbered_sgpr)
	.set _ZN12_GLOBAL__N_141elementwise_kernel_with_index_grid_strideIiZZZN2at6native17logspace_cuda_outERKN3c106ScalarES6_ldRNS1_6TensorEENKUlvE0_clEvENKUlvE1_clEvEUllE_EEvT_T0_PN15function_traitsISD_E11result_typeE.num_named_barrier, max(0, .L_ZN16c10_complex_math3powIdEEN3c107complexIT_EERKS4_S6_.num_named_barrier)
	.set _ZN12_GLOBAL__N_141elementwise_kernel_with_index_grid_strideIiZZZN2at6native17logspace_cuda_outERKN3c106ScalarES6_ldRNS1_6TensorEENKUlvE0_clEvENKUlvE1_clEvEUllE_EEvT_T0_PN15function_traitsISD_E11result_typeE.private_seg_size, 0+max(.L_ZN16c10_complex_math3powIdEEN3c107complexIT_EERKS4_S6_.private_seg_size)
	.set _ZN12_GLOBAL__N_141elementwise_kernel_with_index_grid_strideIiZZZN2at6native17logspace_cuda_outERKN3c106ScalarES6_ldRNS1_6TensorEENKUlvE0_clEvENKUlvE1_clEvEUllE_EEvT_T0_PN15function_traitsISD_E11result_typeE.uses_vcc, or(1, .L_ZN16c10_complex_math3powIdEEN3c107complexIT_EERKS4_S6_.uses_vcc)
	.set _ZN12_GLOBAL__N_141elementwise_kernel_with_index_grid_strideIiZZZN2at6native17logspace_cuda_outERKN3c106ScalarES6_ldRNS1_6TensorEENKUlvE0_clEvENKUlvE1_clEvEUllE_EEvT_T0_PN15function_traitsISD_E11result_typeE.uses_flat_scratch, or(0, .L_ZN16c10_complex_math3powIdEEN3c107complexIT_EERKS4_S6_.uses_flat_scratch)
	.set _ZN12_GLOBAL__N_141elementwise_kernel_with_index_grid_strideIiZZZN2at6native17logspace_cuda_outERKN3c106ScalarES6_ldRNS1_6TensorEENKUlvE0_clEvENKUlvE1_clEvEUllE_EEvT_T0_PN15function_traitsISD_E11result_typeE.has_dyn_sized_stack, or(0, .L_ZN16c10_complex_math3powIdEEN3c107complexIT_EERKS4_S6_.has_dyn_sized_stack)
	.set _ZN12_GLOBAL__N_141elementwise_kernel_with_index_grid_strideIiZZZN2at6native17logspace_cuda_outERKN3c106ScalarES6_ldRNS1_6TensorEENKUlvE0_clEvENKUlvE1_clEvEUllE_EEvT_T0_PN15function_traitsISD_E11result_typeE.has_recursion, or(0, .L_ZN16c10_complex_math3powIdEEN3c107complexIT_EERKS4_S6_.has_recursion)
	.set _ZN12_GLOBAL__N_141elementwise_kernel_with_index_grid_strideIiZZZN2at6native17logspace_cuda_outERKN3c106ScalarES6_ldRNS1_6TensorEENKUlvE0_clEvENKUlvE1_clEvEUllE_EEvT_T0_PN15function_traitsISD_E11result_typeE.has_indirect_call, or(0, .L_ZN16c10_complex_math3powIdEEN3c107complexIT_EERKS4_S6_.has_indirect_call)
	.section	.AMDGPU.csdata,"",@progbits
; Kernel info:
; codeLenInByte = 420
; TotalNumSgprs: 70
; NumVgprs: 43
; NumAgprs: 0
; TotalNumVgprs: 43
; ScratchSize: 0
; MemoryBound: 0
; FloatMode: 240
; IeeeMode: 1
; LDSByteSize: 0 bytes/workgroup (compile time only)
; SGPRBlocks: 8
; VGPRBlocks: 5
; NumSGPRsForWavesPerEU: 70
; NumVGPRsForWavesPerEU: 43
; AccumOffset: 44
; Occupancy: 8
; WaveLimiterHint : 1
; COMPUTE_PGM_RSRC2:SCRATCH_EN: 0
; COMPUTE_PGM_RSRC2:USER_SGPR: 2
; COMPUTE_PGM_RSRC2:TRAP_HANDLER: 0
; COMPUTE_PGM_RSRC2:TGID_X_EN: 1
; COMPUTE_PGM_RSRC2:TGID_Y_EN: 0
; COMPUTE_PGM_RSRC2:TGID_Z_EN: 0
; COMPUTE_PGM_RSRC2:TIDIG_COMP_CNT: 0
; COMPUTE_PGM_RSRC3_GFX90A:ACCUM_OFFSET: 10
; COMPUTE_PGM_RSRC3_GFX90A:TG_SPLIT: 0
	.section	.text._ZN12_GLOBAL__N_141elementwise_kernel_with_index_grid_strideIlZZZN2at6native17logspace_cuda_outERKN3c106ScalarES6_ldRNS1_6TensorEENKUlvE0_clEvENKUlvE1_clEvEUllE_EEvT_T0_PN15function_traitsISD_E11result_typeE,"axG",@progbits,_ZN12_GLOBAL__N_141elementwise_kernel_with_index_grid_strideIlZZZN2at6native17logspace_cuda_outERKN3c106ScalarES6_ldRNS1_6TensorEENKUlvE0_clEvENKUlvE1_clEvEUllE_EEvT_T0_PN15function_traitsISD_E11result_typeE,comdat
	.globl	_ZN12_GLOBAL__N_141elementwise_kernel_with_index_grid_strideIlZZZN2at6native17logspace_cuda_outERKN3c106ScalarES6_ldRNS1_6TensorEENKUlvE0_clEvENKUlvE1_clEvEUllE_EEvT_T0_PN15function_traitsISD_E11result_typeE ; -- Begin function _ZN12_GLOBAL__N_141elementwise_kernel_with_index_grid_strideIlZZZN2at6native17logspace_cuda_outERKN3c106ScalarES6_ldRNS1_6TensorEENKUlvE0_clEvENKUlvE1_clEvEUllE_EEvT_T0_PN15function_traitsISD_E11result_typeE
	.p2align	8
	.type	_ZN12_GLOBAL__N_141elementwise_kernel_with_index_grid_strideIlZZZN2at6native17logspace_cuda_outERKN3c106ScalarES6_ldRNS1_6TensorEENKUlvE0_clEvENKUlvE1_clEvEUllE_EEvT_T0_PN15function_traitsISD_E11result_typeE,@function
_ZN12_GLOBAL__N_141elementwise_kernel_with_index_grid_strideIlZZZN2at6native17logspace_cuda_outERKN3c106ScalarES6_ldRNS1_6TensorEENKUlvE0_clEvENKUlvE1_clEvEUllE_EEvT_T0_PN15function_traitsISD_E11result_typeE: ; @_ZN12_GLOBAL__N_141elementwise_kernel_with_index_grid_strideIlZZZN2at6native17logspace_cuda_outERKN3c106ScalarES6_ldRNS1_6TensorEENKUlvE0_clEvENKUlvE1_clEvEUllE_EEvT_T0_PN15function_traitsISD_E11result_typeE
; %bb.0:
	s_load_dword s3, s[0:1], 0x84
	s_load_dwordx2 s[34:35], s[0:1], 0x0
	s_add_u32 s4, s0, 0x78
	s_addc_u32 s5, s1, 0
	v_mov_b32_e32 v1, 0
	s_waitcnt lgkmcnt(0)
	s_and_b32 s3, s3, 0xffff
	v_mov_b32_e32 v2, s2
	v_mad_u64_u32 v[36:37], s[6:7], s3, v2, v[0:1]
	v_cmp_gt_i64_e32 vcc, s[34:35], v[36:37]
	s_mov_b32 s32, 0
	s_and_saveexec_b64 s[6:7], vcc
	s_cbranch_execz .LBB38_7
; %bb.1:
	s_load_dwordx2 s[6:7], s[0:1], 0x70
	s_load_dword s2, s[4:5], 0x0
	s_load_dwordx8 s[44:51], s[0:1], 0x10
	s_load_dwordx8 s[52:59], s[0:1], 0x30
	s_waitcnt lgkmcnt(0)
	s_load_dwordx2 s[58:59], s[0:1], 0x60
	s_load_dwordx4 s[36:39], s[0:1], 0x50
	v_not_b32_e32 v1, v37
	v_not_b32_e32 v0, v36
	s_mul_hi_u32 s61, s3, s2
	s_mul_i32 s60, s3, s2
	v_lshl_add_u64 v[38:39], v[0:1], 0, s[56:57]
	v_lshl_add_u64 v[0:1], v[36:37], 4, s[6:7]
	;; [unrolled: 1-line block ×3, first 2 shown]
	s_lshl_b64 s[56:57], s[60:61], 4
	s_mov_b64 s[62:63], 0
	v_mov_b32_e32 v42, s61
                                        ; kill: killed $sgpr4 killed $sgpr5
	s_branch .LBB38_3
.LBB38_2:                               ;   in Loop: Header=BB38_3 Depth=1
	s_or_b64 exec, exec, s[64:65]
	v_subrev_co_u32_e32 v38, vcc, s60, v38
	v_lshl_add_u64 v[36:37], v[36:37], 0, s[60:61]
	s_nop 0
	v_subb_co_u32_e32 v39, vcc, v39, v42, vcc
	v_cmp_le_i64_e32 vcc, s[34:35], v[36:37]
	global_store_dwordx4 v[40:41], v[0:3], off offset:-8
	s_or_b64 s[62:63], vcc, s[62:63]
	v_lshl_add_u64 v[40:41], v[40:41], 0, s[56:57]
	s_andn2_b64 exec, exec, s[62:63]
	s_cbranch_execz .LBB38_7
.LBB38_3:                               ; =>This Inner Loop Header: Depth=1
	s_waitcnt lgkmcnt(0)
	v_cmp_le_i64_e32 vcc, s[58:59], v[36:37]
                                        ; implicit-def: $vgpr0_vgpr1
	s_and_saveexec_b64 s[0:1], vcc
	s_xor_b64 s[64:65], exec, s[0:1]
	s_cbranch_execz .LBB38_5
; %bb.4:                                ;   in Loop: Header=BB38_3 Depth=1
	v_cvt_f64_i32_e32 v[0:1], v39
	v_ldexp_f64 v[0:1], v[0:1], 32
	v_cvt_f64_u32_e32 v[2:3], v38
	v_add_f64 v[0:1], v[0:1], v[2:3]
	v_mov_b64_e32 v[2:3], s[48:49]
	v_fma_f64 v[4:5], -s[36:37], v[0:1], v[2:3]
	v_mov_b64_e32 v[2:3], s[50:51]
	v_fma_f64 v[6:7], -s[38:39], v[0:1], v[2:3]
	s_getpc_b64 s[0:1]
	s_add_u32 s0, s0, _ZN16c10_complex_math3powIdEEN3c107complexIT_EERKS4_S6_@rel32@lo+4
	s_addc_u32 s1, s1, _ZN16c10_complex_math3powIdEEN3c107complexIT_EERKS4_S6_@rel32@hi+12
	v_mov_b32_e32 v0, s52
	v_mov_b32_e32 v1, s53
	;; [unrolled: 1-line block ×4, first 2 shown]
	s_swappc_b64 s[30:31], s[0:1]
.LBB38_5:                               ;   in Loop: Header=BB38_3 Depth=1
	s_andn2_saveexec_b64 s[64:65], s[64:65]
	s_cbranch_execz .LBB38_2
; %bb.6:                                ;   in Loop: Header=BB38_3 Depth=1
	v_cvt_f64_u32_e32 v[0:1], v37
	v_ldexp_f64 v[0:1], v[0:1], 32
	v_cvt_f64_u32_e32 v[2:3], v36
	v_add_f64 v[0:1], v[0:1], v[2:3]
	v_mov_b64_e32 v[2:3], s[44:45]
	v_fma_f64 v[4:5], s[36:37], v[0:1], v[2:3]
	v_mov_b64_e32 v[2:3], s[46:47]
	v_fma_f64 v[6:7], s[38:39], v[0:1], v[2:3]
	s_getpc_b64 s[0:1]
	s_add_u32 s0, s0, _ZN16c10_complex_math3powIdEEN3c107complexIT_EERKS4_S6_@rel32@lo+4
	s_addc_u32 s1, s1, _ZN16c10_complex_math3powIdEEN3c107complexIT_EERKS4_S6_@rel32@hi+12
	v_mov_b32_e32 v0, s52
	v_mov_b32_e32 v1, s53
	;; [unrolled: 1-line block ×4, first 2 shown]
	s_swappc_b64 s[30:31], s[0:1]
	s_branch .LBB38_2
.LBB38_7:
	s_endpgm
	.section	.rodata,"a",@progbits
	.p2align	6, 0x0
	.amdhsa_kernel _ZN12_GLOBAL__N_141elementwise_kernel_with_index_grid_strideIlZZZN2at6native17logspace_cuda_outERKN3c106ScalarES6_ldRNS1_6TensorEENKUlvE0_clEvENKUlvE1_clEvEUllE_EEvT_T0_PN15function_traitsISD_E11result_typeE
		.amdhsa_group_segment_fixed_size 0
		.amdhsa_private_segment_fixed_size 0
		.amdhsa_kernarg_size 376
		.amdhsa_user_sgpr_count 2
		.amdhsa_user_sgpr_dispatch_ptr 0
		.amdhsa_user_sgpr_queue_ptr 0
		.amdhsa_user_sgpr_kernarg_segment_ptr 1
		.amdhsa_user_sgpr_dispatch_id 0
		.amdhsa_user_sgpr_kernarg_preload_length 0
		.amdhsa_user_sgpr_kernarg_preload_offset 0
		.amdhsa_user_sgpr_private_segment_size 0
		.amdhsa_uses_dynamic_stack 0
		.amdhsa_enable_private_segment 0
		.amdhsa_system_sgpr_workgroup_id_x 1
		.amdhsa_system_sgpr_workgroup_id_y 0
		.amdhsa_system_sgpr_workgroup_id_z 0
		.amdhsa_system_sgpr_workgroup_info 0
		.amdhsa_system_vgpr_workitem_id 0
		.amdhsa_next_free_vgpr 43
		.amdhsa_next_free_sgpr 66
		.amdhsa_accum_offset 44
		.amdhsa_reserve_vcc 1
		.amdhsa_float_round_mode_32 0
		.amdhsa_float_round_mode_16_64 0
		.amdhsa_float_denorm_mode_32 3
		.amdhsa_float_denorm_mode_16_64 3
		.amdhsa_dx10_clamp 1
		.amdhsa_ieee_mode 1
		.amdhsa_fp16_overflow 0
		.amdhsa_tg_split 0
		.amdhsa_exception_fp_ieee_invalid_op 0
		.amdhsa_exception_fp_denorm_src 0
		.amdhsa_exception_fp_ieee_div_zero 0
		.amdhsa_exception_fp_ieee_overflow 0
		.amdhsa_exception_fp_ieee_underflow 0
		.amdhsa_exception_fp_ieee_inexact 0
		.amdhsa_exception_int_div_zero 0
	.end_amdhsa_kernel
	.section	.text._ZN12_GLOBAL__N_141elementwise_kernel_with_index_grid_strideIlZZZN2at6native17logspace_cuda_outERKN3c106ScalarES6_ldRNS1_6TensorEENKUlvE0_clEvENKUlvE1_clEvEUllE_EEvT_T0_PN15function_traitsISD_E11result_typeE,"axG",@progbits,_ZN12_GLOBAL__N_141elementwise_kernel_with_index_grid_strideIlZZZN2at6native17logspace_cuda_outERKN3c106ScalarES6_ldRNS1_6TensorEENKUlvE0_clEvENKUlvE1_clEvEUllE_EEvT_T0_PN15function_traitsISD_E11result_typeE,comdat
.Lfunc_end38:
	.size	_ZN12_GLOBAL__N_141elementwise_kernel_with_index_grid_strideIlZZZN2at6native17logspace_cuda_outERKN3c106ScalarES6_ldRNS1_6TensorEENKUlvE0_clEvENKUlvE1_clEvEUllE_EEvT_T0_PN15function_traitsISD_E11result_typeE, .Lfunc_end38-_ZN12_GLOBAL__N_141elementwise_kernel_with_index_grid_strideIlZZZN2at6native17logspace_cuda_outERKN3c106ScalarES6_ldRNS1_6TensorEENKUlvE0_clEvENKUlvE1_clEvEUllE_EEvT_T0_PN15function_traitsISD_E11result_typeE
                                        ; -- End function
	.set _ZN12_GLOBAL__N_141elementwise_kernel_with_index_grid_strideIlZZZN2at6native17logspace_cuda_outERKN3c106ScalarES6_ldRNS1_6TensorEENKUlvE0_clEvENKUlvE1_clEvEUllE_EEvT_T0_PN15function_traitsISD_E11result_typeE.num_vgpr, max(43, .L_ZN16c10_complex_math3powIdEEN3c107complexIT_EERKS4_S6_.num_vgpr)
	.set _ZN12_GLOBAL__N_141elementwise_kernel_with_index_grid_strideIlZZZN2at6native17logspace_cuda_outERKN3c106ScalarES6_ldRNS1_6TensorEENKUlvE0_clEvENKUlvE1_clEvEUllE_EEvT_T0_PN15function_traitsISD_E11result_typeE.num_agpr, max(0, .L_ZN16c10_complex_math3powIdEEN3c107complexIT_EERKS4_S6_.num_agpr)
	.set _ZN12_GLOBAL__N_141elementwise_kernel_with_index_grid_strideIlZZZN2at6native17logspace_cuda_outERKN3c106ScalarES6_ldRNS1_6TensorEENKUlvE0_clEvENKUlvE1_clEvEUllE_EEvT_T0_PN15function_traitsISD_E11result_typeE.numbered_sgpr, max(66, .L_ZN16c10_complex_math3powIdEEN3c107complexIT_EERKS4_S6_.numbered_sgpr)
	.set _ZN12_GLOBAL__N_141elementwise_kernel_with_index_grid_strideIlZZZN2at6native17logspace_cuda_outERKN3c106ScalarES6_ldRNS1_6TensorEENKUlvE0_clEvENKUlvE1_clEvEUllE_EEvT_T0_PN15function_traitsISD_E11result_typeE.num_named_barrier, max(0, .L_ZN16c10_complex_math3powIdEEN3c107complexIT_EERKS4_S6_.num_named_barrier)
	.set _ZN12_GLOBAL__N_141elementwise_kernel_with_index_grid_strideIlZZZN2at6native17logspace_cuda_outERKN3c106ScalarES6_ldRNS1_6TensorEENKUlvE0_clEvENKUlvE1_clEvEUllE_EEvT_T0_PN15function_traitsISD_E11result_typeE.private_seg_size, 0+max(.L_ZN16c10_complex_math3powIdEEN3c107complexIT_EERKS4_S6_.private_seg_size)
	.set _ZN12_GLOBAL__N_141elementwise_kernel_with_index_grid_strideIlZZZN2at6native17logspace_cuda_outERKN3c106ScalarES6_ldRNS1_6TensorEENKUlvE0_clEvENKUlvE1_clEvEUllE_EEvT_T0_PN15function_traitsISD_E11result_typeE.uses_vcc, or(1, .L_ZN16c10_complex_math3powIdEEN3c107complexIT_EERKS4_S6_.uses_vcc)
	.set _ZN12_GLOBAL__N_141elementwise_kernel_with_index_grid_strideIlZZZN2at6native17logspace_cuda_outERKN3c106ScalarES6_ldRNS1_6TensorEENKUlvE0_clEvENKUlvE1_clEvEUllE_EEvT_T0_PN15function_traitsISD_E11result_typeE.uses_flat_scratch, or(0, .L_ZN16c10_complex_math3powIdEEN3c107complexIT_EERKS4_S6_.uses_flat_scratch)
	.set _ZN12_GLOBAL__N_141elementwise_kernel_with_index_grid_strideIlZZZN2at6native17logspace_cuda_outERKN3c106ScalarES6_ldRNS1_6TensorEENKUlvE0_clEvENKUlvE1_clEvEUllE_EEvT_T0_PN15function_traitsISD_E11result_typeE.has_dyn_sized_stack, or(0, .L_ZN16c10_complex_math3powIdEEN3c107complexIT_EERKS4_S6_.has_dyn_sized_stack)
	.set _ZN12_GLOBAL__N_141elementwise_kernel_with_index_grid_strideIlZZZN2at6native17logspace_cuda_outERKN3c106ScalarES6_ldRNS1_6TensorEENKUlvE0_clEvENKUlvE1_clEvEUllE_EEvT_T0_PN15function_traitsISD_E11result_typeE.has_recursion, or(0, .L_ZN16c10_complex_math3powIdEEN3c107complexIT_EERKS4_S6_.has_recursion)
	.set _ZN12_GLOBAL__N_141elementwise_kernel_with_index_grid_strideIlZZZN2at6native17logspace_cuda_outERKN3c106ScalarES6_ldRNS1_6TensorEENKUlvE0_clEvENKUlvE1_clEvEUllE_EEvT_T0_PN15function_traitsISD_E11result_typeE.has_indirect_call, or(0, .L_ZN16c10_complex_math3powIdEEN3c107complexIT_EERKS4_S6_.has_indirect_call)
	.section	.AMDGPU.csdata,"",@progbits
; Kernel info:
; codeLenInByte = 448
; TotalNumSgprs: 72
; NumVgprs: 43
; NumAgprs: 0
; TotalNumVgprs: 43
; ScratchSize: 0
; MemoryBound: 0
; FloatMode: 240
; IeeeMode: 1
; LDSByteSize: 0 bytes/workgroup (compile time only)
; SGPRBlocks: 8
; VGPRBlocks: 5
; NumSGPRsForWavesPerEU: 72
; NumVGPRsForWavesPerEU: 43
; AccumOffset: 44
; Occupancy: 8
; WaveLimiterHint : 1
; COMPUTE_PGM_RSRC2:SCRATCH_EN: 0
; COMPUTE_PGM_RSRC2:USER_SGPR: 2
; COMPUTE_PGM_RSRC2:TRAP_HANDLER: 0
; COMPUTE_PGM_RSRC2:TGID_X_EN: 1
; COMPUTE_PGM_RSRC2:TGID_Y_EN: 0
; COMPUTE_PGM_RSRC2:TGID_Z_EN: 0
; COMPUTE_PGM_RSRC2:TIDIG_COMP_CNT: 0
; COMPUTE_PGM_RSRC3_GFX90A:ACCUM_OFFSET: 10
; COMPUTE_PGM_RSRC3_GFX90A:TG_SPLIT: 0
	.text
	.p2align	2                               ; -- Begin function _ZN16c10_complex_math3powIfEEN3c107complexIT_EERKS4_S6_
	.type	_ZN16c10_complex_math3powIfEEN3c107complexIT_EERKS4_S6_,@function
_ZN16c10_complex_math3powIfEEN3c107complexIT_EERKS4_S6_: ; @_ZN16c10_complex_math3powIfEEN3c107complexIT_EERKS4_S6_
; %bb.0:
	s_waitcnt vmcnt(0) expcnt(0) lgkmcnt(0)
	v_cmp_o_f32_e32 vcc, v0, v1
                                        ; implicit-def: $vgpr6
                                        ; implicit-def: $vgpr7
	s_and_saveexec_b64 s[0:1], vcc
	s_xor_b64 s[4:5], exec, s[0:1]
	s_cbranch_execz .LBB39_28
; %bb.1:
	v_cmp_lt_f32_e64 s[0:1], |v0|, |v1|
	s_mov_b32 s2, 0x77f684df
                                        ; implicit-def: $vgpr6
                                        ; implicit-def: $vgpr7
	s_nop 0
	v_cndmask_b32_e64 v4, v1, v0, s[0:1]
	v_cmp_ngt_f32_e64 s[2:3], |v4|, s2
	s_and_saveexec_b64 s[6:7], s[2:3]
	s_xor_b64 s[6:7], exec, s[6:7]
	s_cbranch_execz .LBB39_25
; %bb.2:
	v_cndmask_b32_e64 v5, v0, v1, s[0:1]
	v_and_b32_e32 v5, 0x7fffffff, v5
	v_and_b32_e32 v4, 0x7fffffff, v4
	v_cmp_neq_f32_e32 vcc, 1.0, v5
                                        ; implicit-def: $vgpr6
                                        ; implicit-def: $vgpr7
	s_and_saveexec_b64 s[2:3], vcc
	s_xor_b64 s[8:9], exec, s[2:3]
	s_cbranch_execz .LBB39_18
; %bb.3:
	v_max_f32_e32 v6, v4, v4
	v_max_f32_e32 v7, v5, v5
	v_min_f32_e32 v8, v7, v6
	s_mov_b32 s2, 0x358637bd
	v_cmp_ngt_f32_e32 vcc, s2, v8
	v_max_f32_e32 v6, v7, v6
	s_mov_b32 s2, 0x49742400
	v_cmp_nlt_f32_e64 s[2:3], s2, v6
	s_and_b64 s[2:3], s[2:3], vcc
                                        ; implicit-def: $vgpr6
                                        ; implicit-def: $vgpr7
	s_and_saveexec_b64 s[10:11], s[2:3]
	s_xor_b64 s[10:11], exec, s[10:11]
	s_cbranch_execz .LBB39_15
; %bb.4:
	s_mov_b32 s3, 1.0
	v_cmp_le_f32_e32 vcc, 1.0, v5
                                        ; implicit-def: $vgpr6
                                        ; implicit-def: $vgpr7
	s_and_saveexec_b64 s[12:13], vcc
	s_xor_b64 s[12:13], exec, s[12:13]
	s_cbranch_execz .LBB39_6
; %bb.5:
	s_mov_b32 s2, -1.0
	v_pk_add_f32 v[6:7], v[4:5], s[2:3] op_sel:[1,0]
	v_mov_b32_e32 v8, v4
	v_mov_b32_e32 v5, v6
	;; [unrolled: 1-line block ×3, first 2 shown]
	v_mul_f32_e32 v6, v6, v7
	v_pk_fma_f32 v[4:5], v[4:5], v[8:9], v[6:7] op_sel_hi:[1,1,0]
	s_mov_b32 s2, 0x3f2aaaab
	v_add_f32_e32 v7, 1.0, v4
	v_add_f32_e32 v5, -1.0, v7
	v_mov_b32_e32 v6, v5
	v_pk_add_f32 v[8:9], v[4:5], v[6:7] neg_lo:[0,1] neg_hi:[0,1]
	v_frexp_mant_f32_e32 v6, v7
	v_add_f32_e32 v5, 1.0, v9
	v_add_f32_e32 v5, v8, v5
	v_cvt_f64_f32_e32 v[8:9], v7
	v_frexp_exp_i32_f64_e32 v8, v[8:9]
	v_cmp_gt_f32_e32 vcc, s2, v6
	s_mov_b32 s2, 0x3f317218
	s_movk_i32 s14, 0x204
	v_subbrev_co_u32_e32 v14, vcc, 0, v8, vcc
	v_sub_u32_e32 v6, 0, v14
	v_ldexp_f32 v7, v7, v6
	v_ldexp_f32 v5, v5, v6
	v_add_f32_e32 v6, -1.0, v7
	v_add_f32_e32 v9, 1.0, v7
	v_add_f32_e32 v8, 1.0, v6
	v_add_f32_e32 v10, -1.0, v9
	v_sub_f32_e32 v8, v7, v8
	v_sub_f32_e32 v7, v7, v10
	v_add_f32_e32 v8, v5, v8
	v_add_f32_e32 v5, v5, v7
	;; [unrolled: 1-line block ×3, first 2 shown]
	v_rcp_f32_e32 v16, v15
	v_sub_f32_e32 v7, v15, v9
	v_sub_f32_e32 v5, v5, v7
	v_add_f32_e32 v7, v6, v8
	v_sub_f32_e32 v6, v7, v6
	v_mul_f32_e32 v18, v7, v16
	v_sub_f32_e32 v17, v8, v6
	v_mul_f32_e32 v8, v15, v18
	v_fma_f32 v10, v18, v15, -v8
	v_fmac_f32_e32 v10, v18, v5
	v_add_f32_e32 v6, v8, v10
	v_sub_f32_e32 v9, v7, v6
	v_pk_add_f32 v[12:13], v[6:7], v[8:9] neg_lo:[0,1] neg_hi:[0,1]
	v_mov_b32_e32 v11, v6
	v_pk_add_f32 v[6:7], v[12:13], v[10:11] neg_lo:[0,1] neg_hi:[0,1]
	s_nop 0
	v_add_f32_e32 v7, v17, v7
	v_add_f32_e32 v6, v6, v7
	;; [unrolled: 1-line block ×3, first 2 shown]
	v_mul_f32_e32 v17, v16, v7
	v_mul_f32_e32 v8, v15, v17
	v_fma_f32 v10, v17, v15, -v8
	v_fmac_f32_e32 v10, v17, v5
	v_sub_f32_e32 v5, v9, v7
	v_add_f32_e32 v5, v6, v5
	v_add_f32_e32 v6, v8, v10
	v_sub_f32_e32 v9, v7, v6
	v_pk_add_f32 v[12:13], v[6:7], v[8:9] neg_lo:[0,1] neg_hi:[0,1]
	v_mov_b32_e32 v11, v6
	v_pk_add_f32 v[6:7], v[12:13], v[10:11] neg_lo:[0,1] neg_hi:[0,1]
	v_cvt_f32_i32_e32 v8, v14
	v_add_f32_e32 v5, v5, v7
	v_add_f32_e32 v5, v6, v5
	;; [unrolled: 1-line block ×4, first 2 shown]
	v_sub_f32_e32 v7, v6, v18
	v_mul_f32_e32 v5, v16, v5
	v_sub_f32_e32 v7, v17, v7
	v_add_f32_e32 v5, v7, v5
	v_add_f32_e32 v9, v6, v5
	v_mul_f32_e32 v10, v9, v9
	v_mov_b32_e32 v7, 0x3ecc95a3
	v_fmac_f32_e32 v7, 0x3e9b6dac, v10
	v_sub_f32_e32 v6, v9, v6
	v_fmaak_f32 v7, v10, v7, 0x3f2aaada
	v_sub_f32_e32 v5, v5, v6
	v_ldexp_f32 v11, v9, 1
	v_mul_f32_e32 v9, v9, v10
	v_mov_b32_e32 v6, 0x3f317218
	v_pk_mul_f32 v[6:7], v[8:9], v[6:7]
	v_ldexp_f32 v5, v5, 1
	v_fma_f32 v9, v8, s2, -v6
	v_fmamk_f32 v10, v8, 0xb102e308, v9
	v_pk_add_f32 v[8:9], v[6:7], v[10:11]
	v_mov_b32_e32 v12, v6
	v_sub_f32_e32 v11, v9, v11
	v_sub_f32_e32 v11, v7, v11
	v_add_f32_e32 v13, v5, v11
	v_pk_add_f32 v[6:7], v[8:9], v[6:7] neg_lo:[0,1] neg_hi:[0,1]
	v_pk_add_f32 v[14:15], v[8:9], v[12:13]
	v_mov_b32_e32 v11, v8
	v_mov_b32_e32 v7, v15
	v_pk_add_f32 v[16:17], v[10:11], v[6:7] neg_lo:[0,1] neg_hi:[0,1]
	v_pk_add_f32 v[6:7], v[10:11], v[6:7]
	v_mov_b32_e32 v12, v13
	v_pk_add_f32 v[10:11], v[6:7], v[8:9] op_sel:[1,0] op_sel_hi:[0,1] neg_lo:[0,1] neg_hi:[0,1]
	v_pk_add_f32 v[18:19], v[14:15], v[10:11] op_sel_hi:[1,0] neg_lo:[0,1] neg_hi:[0,1]
	v_mov_b32_e32 v14, v15
	v_mov_b32_e32 v15, v7
	v_pk_mov_b32 v[10:11], v[8:9], v[10:11] op_sel:[1,0]
	v_mov_b32_e32 v13, v8
	v_pk_add_f32 v[10:11], v[14:15], v[10:11] neg_lo:[0,1] neg_hi:[0,1]
	v_mov_b32_e32 v18, v16
	v_pk_add_f32 v[8:9], v[12:13], v[10:11] neg_lo:[0,1] neg_hi:[0,1]
	v_mov_b32_e32 v17, v7
	v_pk_add_f32 v[10:11], v[18:19], v[8:9]
	s_mov_b32 s2, 0x7f800000
	v_pk_add_f32 v[12:13], v[10:11], v[10:11] op_sel:[0,1] op_sel_hi:[1,0]
	v_cmp_neq_f32_e32 vcc, s2, v4
	v_pk_add_f32 v[6:7], v[6:7], v[12:13] op_sel:[1,0] op_sel_hi:[0,1]
	v_mov_b32_e32 v11, v6
	v_pk_add_f32 v[14:15], v[10:11], v[16:17] neg_lo:[0,1] neg_hi:[0,1]
	v_mov_b32_e32 v9, v12
	v_sub_f32_e32 v5, v10, v14
	v_pk_add_f32 v[8:9], v[8:9], v[14:15] neg_lo:[0,1] neg_hi:[0,1]
	v_sub_f32_e32 v5, v16, v5
	v_add_f32_e32 v5, v8, v5
	v_add_f32_e32 v5, v5, v9
	;; [unrolled: 1-line block ×3, first 2 shown]
	v_mov_b32_e32 v6, 0x7f800000
	v_cndmask_b32_e32 v5, v6, v5, vcc
	v_mov_b32_e32 v6, 0x7fc00000
	v_cmp_ngt_f32_e32 vcc, -1.0, v4
	s_mov_b32 s2, 0x33800000
	s_nop 0
	v_cndmask_b32_e32 v5, v6, v5, vcc
	v_mov_b32_e32 v6, 0xff800000
	v_cmp_neq_f32_e32 vcc, -1.0, v4
	s_nop 1
	v_cndmask_b32_e32 v5, v6, v5, vcc
	v_cmp_lt_f32_e64 vcc, |v4|, s2
	v_cmp_gt_i32_e64 s[2:3], 0, v0
	s_nop 0
	v_cndmask_b32_e32 v4, v5, v4, vcc
	v_mul_f32_e32 v6, 0.5, v4
	v_max_f32_e64 v4, |v1|, |v1|
	v_max_f32_e64 v5, |v0|, |v0|
	v_min_f32_e32 v7, v5, v4
	v_max_f32_e32 v4, v5, v4
	v_frexp_mant_f32_e32 v5, v4
	v_rcp_f32_e32 v5, v5
	v_frexp_exp_i32_f32_e32 v4, v4
	v_frexp_exp_i32_f32_e32 v8, v7
	v_frexp_mant_f32_e32 v7, v7
	v_mul_f32_e32 v5, v7, v5
	v_sub_u32_e32 v4, v8, v4
	v_ldexp_f32 v4, v5, v4
	v_mul_f32_e32 v5, v4, v4
	v_mov_b32_e32 v7, 0xbc7a590c
	v_fmac_f32_e32 v7, 0x3b2d2a58, v5
	v_fmaak_f32 v7, v5, v7, 0x3d29fb3f
	v_fmaak_f32 v7, v5, v7, 0xbd97d4d7
	;; [unrolled: 1-line block ×6, first 2 shown]
	v_mul_f32_e32 v5, v5, v7
	v_fmac_f32_e32 v4, v4, v5
	v_sub_f32_e32 v5, 0x3fc90fdb, v4
	v_cndmask_b32_e64 v4, v4, v5, s[0:1]
	v_sub_f32_e32 v5, 0x40490fdb, v4
	v_cmp_gt_f32_e32 vcc, 0, v0
	v_mov_b32_e32 v7, 0x4016cbe4
	s_nop 0
	v_cndmask_b32_e32 v4, v4, v5, vcc
	v_mov_b32_e32 v5, 0x40490fdb
	v_cndmask_b32_e64 v5, 0, v5, s[2:3]
	v_cmp_eq_f32_e64 s[2:3], 0, v1
	s_nop 1
	v_cndmask_b32_e64 v4, v4, v5, s[2:3]
	v_mov_b32_e32 v5, 0x3f490fdb
	v_cmp_class_f32_e64 s[2:3], v0, s14
	v_cmp_class_f32_e64 s[14:15], v1, s14
	v_cndmask_b32_e32 v5, v5, v7, vcc
	s_and_b64 vcc, s[2:3], s[14:15]
	v_cndmask_b32_e32 v7, v4, v5, vcc
                                        ; implicit-def: $vgpr4_vgpr5
.LBB39_6:
	s_andn2_saveexec_b64 s[12:13], s[12:13]
	s_cbranch_execz .LBB39_14
; %bb.7:
	v_pk_mul_f32 v[6:7], v[4:5], v[4:5]
	s_mov_b32 s2, 0x3f333333
	v_add_f32_e32 v8, v7, v6
	v_cmp_ge_f32_e32 vcc, s2, v8
                                        ; implicit-def: $vgpr6
                                        ; implicit-def: $vgpr7
	s_and_saveexec_b64 s[2:3], vcc
	s_xor_b64 s[14:15], exec, s[2:3]
	s_cbranch_execz .LBB39_9
; %bb.8:
	s_mov_b32 s2, 0x800000
	v_cmp_gt_f32_e32 vcc, s2, v8
	s_mov_b32 s2, 0x3f317217
	s_mov_b32 s3, 0x7f800000
	v_cndmask_b32_e64 v4, 0, 32, vcc
	v_ldexp_f32 v4, v8, v4
	v_log_f32_e32 v4, v4
	s_movk_i32 s16, 0x204
	v_mul_f32_e32 v5, 0x3f317217, v4
	v_fma_f32 v5, v4, s2, -v5
	v_fmamk_f32 v5, v4, 0x3377d1cf, v5
	v_fmac_f32_e32 v5, 0x3f317217, v4
	v_cmp_lt_f32_e64 s[2:3], |v4|, s3
	s_nop 1
	v_cndmask_b32_e64 v4, v4, v5, s[2:3]
	v_mov_b32_e32 v5, 0x41b17218
	v_cndmask_b32_e32 v5, 0, v5, vcc
	v_sub_f32_e32 v4, v4, v5
	v_mul_f32_e32 v6, 0.5, v4
	v_max_f32_e64 v4, |v1|, |v1|
	v_max_f32_e64 v5, |v0|, |v0|
	v_min_f32_e32 v7, v5, v4
	v_max_f32_e32 v4, v5, v4
	v_frexp_mant_f32_e32 v5, v4
	v_rcp_f32_e32 v5, v5
	v_frexp_exp_i32_f32_e32 v4, v4
	v_frexp_exp_i32_f32_e32 v8, v7
	v_frexp_mant_f32_e32 v7, v7
	v_mul_f32_e32 v5, v7, v5
	v_sub_u32_e32 v4, v8, v4
	v_ldexp_f32 v4, v5, v4
	v_mul_f32_e32 v5, v4, v4
	v_mov_b32_e32 v7, 0xbc7a590c
	v_fmac_f32_e32 v7, 0x3b2d2a58, v5
	v_fmaak_f32 v7, v5, v7, 0x3d29fb3f
	v_fmaak_f32 v7, v5, v7, 0xbd97d4d7
	;; [unrolled: 1-line block ×6, first 2 shown]
	v_mul_f32_e32 v5, v5, v7
	v_fmac_f32_e32 v4, v4, v5
	v_sub_f32_e32 v5, 0x3fc90fdb, v4
	v_cndmask_b32_e64 v4, v4, v5, s[0:1]
	v_sub_f32_e32 v5, 0x40490fdb, v4
	v_cmp_gt_f32_e32 vcc, 0, v0
	v_cmp_gt_i32_e64 s[2:3], 0, v0
	v_mov_b32_e32 v7, 0x4016cbe4
	v_cndmask_b32_e32 v4, v4, v5, vcc
	v_mov_b32_e32 v5, 0x40490fdb
	v_cndmask_b32_e64 v5, 0, v5, s[2:3]
	v_cmp_eq_f32_e64 s[2:3], 0, v1
	s_nop 1
	v_cndmask_b32_e64 v4, v4, v5, s[2:3]
	v_mov_b32_e32 v5, 0x3f490fdb
	v_cmp_class_f32_e64 s[2:3], v0, s16
	v_cmp_class_f32_e64 s[16:17], v1, s16
	v_cndmask_b32_e32 v5, v5, v7, vcc
	s_and_b64 vcc, s[2:3], s[16:17]
	v_cndmask_b32_e32 v7, v4, v5, vcc
                                        ; implicit-def: $vgpr4_vgpr5
.LBB39_9:
	s_andn2_saveexec_b64 s[14:15], s[14:15]
	s_cbranch_execz .LBB39_13
; %bb.10:
	v_pk_mov_b32 v[6:7], v[4:5], v[4:5] op_sel:[1,0]
	s_mov_b64 s[16:17], 0
	v_and_b32_e32 v7, 0x7fff0000, v7
	v_and_b32_e32 v6, 0x7fff0000, v6
	v_pk_add_f32 v[4:5], v[4:5], v[6:7] op_sel:[1,0] op_sel_hi:[0,1] neg_lo:[0,1] neg_hi:[0,1]
	v_and_b32_e32 v9, 0xffff0000, v5
	v_and_b32_e32 v8, 0xffff0000, v4
	v_add_f32_e32 v12, v6, v6
	v_pk_add_f32 v[16:17], v[4:5], v[8:9] neg_lo:[0,1] neg_hi:[0,1]
	v_pk_mul_f32 v[4:5], v[6:7], v[6:7]
	v_mul_f32_e32 v11, v12, v8
	v_add_f32_e32 v14, v7, v7
	v_pk_mul_f32 v[6:7], v[8:9], v[8:9]
	v_add_f32_e32 v8, v8, v8
	v_mul_f32_e32 v10, v14, v9
	v_mul_f32_e32 v13, v12, v16
	;; [unrolled: 1-line block ×4, first 2 shown]
	v_add_f32_e32 v8, v9, v9
	v_mul_f32_e32 v15, v8, v17
	v_pk_mul_f32 v[8:9], v[16:17], v[16:17]
.LBB39_11:                              ; =>This Inner Loop Header: Depth=1
	v_cmp_nlt_f32_e32 vcc, v4, v5
	s_nop 1
	v_cndmask_b32_e32 v16, v4, v5, vcc
	v_cmp_nlt_f32_e64 s[2:3], v16, v11
	v_cndmask_b32_e32 v4, v5, v4, vcc
	s_and_b64 s[18:19], vcc, s[2:3]
	v_cndmask_b32_e64 v17, v16, v11, s[2:3]
	v_cmp_nlt_f32_e32 vcc, v17, v10
	v_cndmask_b32_e64 v5, v11, v16, s[2:3]
	s_nop 0
	v_cndmask_b32_e32 v16, v17, v10, vcc
	v_cmp_nlt_f32_e64 s[2:3], v16, v6
	v_cndmask_b32_e32 v11, v10, v17, vcc
	s_and_b64 s[20:21], vcc, s[2:3]
	v_cndmask_b32_e64 v17, v16, v6, s[2:3]
	v_cmp_nlt_f32_e32 vcc, v17, v7
	v_cndmask_b32_e64 v10, v6, v16, s[2:3]
	s_nop 0
	v_cndmask_b32_e32 v16, v17, v7, vcc
	v_cmp_nlt_f32_e64 s[2:3], v16, v13
	v_cndmask_b32_e32 v6, v7, v17, vcc
	s_nop 0
	v_cndmask_b32_e64 v17, v16, v13, s[2:3]
	v_cndmask_b32_e64 v7, v13, v16, s[2:3]
	s_and_b64 s[2:3], vcc, s[2:3]
	v_cmp_nlt_f32_e32 vcc, v17, v12
	s_and_b64 s[2:3], s[2:3], vcc
	s_nop 0
	v_cndmask_b32_e32 v16, v17, v12, vcc
	v_cndmask_b32_e32 v13, v12, v17, vcc
	v_cmp_nlt_f32_e32 vcc, v16, v14
	s_and_b64 s[2:3], s[2:3], vcc
	s_nop 0
	v_cndmask_b32_e32 v17, v16, v14, vcc
	v_cndmask_b32_e32 v12, v14, v16, vcc
	;; [unrolled: 5-line block ×4, first 2 shown]
	v_cmp_nlt_f32_e32 vcc, v17, v9
	s_and_b64 s[2:3], s[2:3], vcc
	s_and_b64 s[2:3], s[2:3], s[20:21]
	s_and_b64 s[2:3], s[2:3], s[18:19]
	s_and_b64 s[2:3], exec, s[2:3]
	v_cndmask_b32_e32 v8, v9, v17, vcc
	s_or_b64 s[16:17], s[2:3], s[16:17]
	v_cndmask_b32_e32 v9, v17, v9, vcc
	s_andn2_b64 exec, exec, s[16:17]
	s_cbranch_execnz .LBB39_11
; %bb.12:
	s_or_b64 exec, exec, s[16:17]
	v_add_f32_e32 v4, -1.0, v4
	v_add_f32_e32 v4, v4, v5
	v_add_f32_e32 v4, v4, v11
	;; [unrolled: 1-line block ×11, first 2 shown]
	v_add_f32_e32 v7, 1.0, v4
	v_add_f32_e32 v5, -1.0, v7
	v_mov_b32_e32 v6, v5
	v_pk_add_f32 v[8:9], v[4:5], v[6:7] neg_lo:[0,1] neg_hi:[0,1]
	v_frexp_mant_f32_e32 v6, v7
	v_add_f32_e32 v5, 1.0, v9
	v_add_f32_e32 v5, v8, v5
	s_mov_b32 s2, 0x3f2aaaab
	v_cvt_f64_f32_e32 v[8:9], v7
	v_frexp_exp_i32_f64_e32 v8, v[8:9]
	v_cmp_gt_f32_e32 vcc, s2, v6
	s_mov_b32 s2, 0x3f317218
	s_movk_i32 s16, 0x204
	v_subbrev_co_u32_e32 v14, vcc, 0, v8, vcc
	v_sub_u32_e32 v6, 0, v14
	v_ldexp_f32 v7, v7, v6
	v_ldexp_f32 v5, v5, v6
	v_add_f32_e32 v6, -1.0, v7
	v_add_f32_e32 v9, 1.0, v7
	v_add_f32_e32 v8, 1.0, v6
	v_add_f32_e32 v10, -1.0, v9
	v_sub_f32_e32 v8, v7, v8
	v_sub_f32_e32 v7, v7, v10
	v_add_f32_e32 v8, v5, v8
	v_add_f32_e32 v5, v5, v7
	;; [unrolled: 1-line block ×3, first 2 shown]
	v_rcp_f32_e32 v16, v15
	v_sub_f32_e32 v7, v15, v9
	v_sub_f32_e32 v5, v5, v7
	v_add_f32_e32 v7, v6, v8
	v_sub_f32_e32 v6, v7, v6
	v_mul_f32_e32 v18, v7, v16
	v_sub_f32_e32 v17, v8, v6
	v_mul_f32_e32 v8, v15, v18
	v_fma_f32 v10, v18, v15, -v8
	v_fmac_f32_e32 v10, v18, v5
	v_add_f32_e32 v6, v8, v10
	v_sub_f32_e32 v9, v7, v6
	v_pk_add_f32 v[12:13], v[6:7], v[8:9] neg_lo:[0,1] neg_hi:[0,1]
	v_mov_b32_e32 v11, v6
	v_pk_add_f32 v[6:7], v[12:13], v[10:11] neg_lo:[0,1] neg_hi:[0,1]
	s_nop 0
	v_add_f32_e32 v7, v17, v7
	v_add_f32_e32 v6, v6, v7
	;; [unrolled: 1-line block ×3, first 2 shown]
	v_mul_f32_e32 v17, v16, v7
	v_mul_f32_e32 v8, v15, v17
	v_fma_f32 v10, v17, v15, -v8
	v_fmac_f32_e32 v10, v17, v5
	v_sub_f32_e32 v5, v9, v7
	v_add_f32_e32 v5, v6, v5
	v_add_f32_e32 v6, v8, v10
	v_sub_f32_e32 v9, v7, v6
	v_pk_add_f32 v[12:13], v[6:7], v[8:9] neg_lo:[0,1] neg_hi:[0,1]
	v_mov_b32_e32 v11, v6
	v_pk_add_f32 v[6:7], v[12:13], v[10:11] neg_lo:[0,1] neg_hi:[0,1]
	v_cvt_f32_i32_e32 v8, v14
	v_add_f32_e32 v5, v5, v7
	v_add_f32_e32 v5, v6, v5
	v_add_f32_e32 v6, v18, v17
	v_add_f32_e32 v5, v9, v5
	v_sub_f32_e32 v7, v6, v18
	v_mul_f32_e32 v5, v16, v5
	v_sub_f32_e32 v7, v17, v7
	v_add_f32_e32 v5, v7, v5
	v_add_f32_e32 v9, v6, v5
	v_mul_f32_e32 v10, v9, v9
	v_mov_b32_e32 v7, 0x3ecc95a3
	v_fmac_f32_e32 v7, 0x3e9b6dac, v10
	v_sub_f32_e32 v6, v9, v6
	v_fmaak_f32 v7, v10, v7, 0x3f2aaada
	v_sub_f32_e32 v5, v5, v6
	v_ldexp_f32 v11, v9, 1
	v_mul_f32_e32 v9, v9, v10
	v_mov_b32_e32 v6, 0x3f317218
	v_pk_mul_f32 v[6:7], v[8:9], v[6:7]
	v_ldexp_f32 v5, v5, 1
	v_fma_f32 v9, v8, s2, -v6
	v_fmamk_f32 v10, v8, 0xb102e308, v9
	v_pk_add_f32 v[8:9], v[6:7], v[10:11]
	v_mov_b32_e32 v12, v6
	v_sub_f32_e32 v11, v9, v11
	v_sub_f32_e32 v11, v7, v11
	v_add_f32_e32 v13, v5, v11
	v_pk_add_f32 v[6:7], v[8:9], v[6:7] neg_lo:[0,1] neg_hi:[0,1]
	v_pk_add_f32 v[14:15], v[8:9], v[12:13]
	v_mov_b32_e32 v11, v8
	v_mov_b32_e32 v7, v15
	v_pk_add_f32 v[16:17], v[10:11], v[6:7] neg_lo:[0,1] neg_hi:[0,1]
	v_pk_add_f32 v[6:7], v[10:11], v[6:7]
	v_mov_b32_e32 v12, v13
	v_pk_add_f32 v[10:11], v[6:7], v[8:9] op_sel:[1,0] op_sel_hi:[0,1] neg_lo:[0,1] neg_hi:[0,1]
	v_pk_add_f32 v[18:19], v[14:15], v[10:11] op_sel_hi:[1,0] neg_lo:[0,1] neg_hi:[0,1]
	v_mov_b32_e32 v14, v15
	v_mov_b32_e32 v15, v7
	v_pk_mov_b32 v[10:11], v[8:9], v[10:11] op_sel:[1,0]
	v_mov_b32_e32 v13, v8
	v_pk_add_f32 v[10:11], v[14:15], v[10:11] neg_lo:[0,1] neg_hi:[0,1]
	v_mov_b32_e32 v18, v16
	v_pk_add_f32 v[8:9], v[12:13], v[10:11] neg_lo:[0,1] neg_hi:[0,1]
	v_mov_b32_e32 v17, v7
	v_pk_add_f32 v[10:11], v[18:19], v[8:9]
	s_mov_b32 s2, 0x7f800000
	v_pk_add_f32 v[12:13], v[10:11], v[10:11] op_sel:[0,1] op_sel_hi:[1,0]
	v_cmp_neq_f32_e32 vcc, s2, v4
	v_pk_add_f32 v[6:7], v[6:7], v[12:13] op_sel:[1,0] op_sel_hi:[0,1]
	v_mov_b32_e32 v11, v6
	v_pk_add_f32 v[14:15], v[10:11], v[16:17] neg_lo:[0,1] neg_hi:[0,1]
	v_mov_b32_e32 v9, v12
	v_sub_f32_e32 v5, v10, v14
	v_pk_add_f32 v[8:9], v[8:9], v[14:15] neg_lo:[0,1] neg_hi:[0,1]
	v_sub_f32_e32 v5, v16, v5
	v_add_f32_e32 v5, v8, v5
	v_add_f32_e32 v5, v5, v9
	;; [unrolled: 1-line block ×3, first 2 shown]
	v_mov_b32_e32 v6, 0x7f800000
	v_cndmask_b32_e32 v5, v6, v5, vcc
	v_mov_b32_e32 v6, 0x7fc00000
	v_cmp_ngt_f32_e32 vcc, -1.0, v4
	s_mov_b32 s2, 0x33800000
	s_nop 0
	v_cndmask_b32_e32 v5, v6, v5, vcc
	v_mov_b32_e32 v6, 0xff800000
	v_cmp_neq_f32_e32 vcc, -1.0, v4
	s_nop 1
	v_cndmask_b32_e32 v5, v6, v5, vcc
	v_cmp_lt_f32_e64 vcc, |v4|, s2
	v_cmp_gt_i32_e64 s[2:3], 0, v0
	s_nop 0
	v_cndmask_b32_e32 v4, v5, v4, vcc
	v_mul_f32_e32 v6, 0.5, v4
	v_max_f32_e64 v4, |v1|, |v1|
	v_max_f32_e64 v5, |v0|, |v0|
	v_min_f32_e32 v7, v5, v4
	v_max_f32_e32 v4, v5, v4
	v_frexp_mant_f32_e32 v5, v4
	v_rcp_f32_e32 v5, v5
	v_frexp_exp_i32_f32_e32 v4, v4
	v_frexp_exp_i32_f32_e32 v8, v7
	v_frexp_mant_f32_e32 v7, v7
	v_mul_f32_e32 v5, v7, v5
	v_sub_u32_e32 v4, v8, v4
	v_ldexp_f32 v4, v5, v4
	v_mul_f32_e32 v5, v4, v4
	v_mov_b32_e32 v7, 0xbc7a590c
	v_fmac_f32_e32 v7, 0x3b2d2a58, v5
	v_fmaak_f32 v7, v5, v7, 0x3d29fb3f
	v_fmaak_f32 v7, v5, v7, 0xbd97d4d7
	;; [unrolled: 1-line block ×6, first 2 shown]
	v_mul_f32_e32 v5, v5, v7
	v_fmac_f32_e32 v4, v4, v5
	v_sub_f32_e32 v5, 0x3fc90fdb, v4
	v_cndmask_b32_e64 v4, v4, v5, s[0:1]
	v_sub_f32_e32 v5, 0x40490fdb, v4
	v_cmp_gt_f32_e32 vcc, 0, v0
	v_mov_b32_e32 v7, 0x4016cbe4
	s_nop 0
	v_cndmask_b32_e32 v4, v4, v5, vcc
	v_mov_b32_e32 v5, 0x40490fdb
	v_cndmask_b32_e64 v5, 0, v5, s[2:3]
	v_cmp_eq_f32_e64 s[2:3], 0, v1
	s_nop 1
	v_cndmask_b32_e64 v4, v4, v5, s[2:3]
	v_mov_b32_e32 v5, 0x3f490fdb
	v_cmp_class_f32_e64 s[2:3], v0, s16
	v_cmp_class_f32_e64 s[16:17], v1, s16
	v_cndmask_b32_e32 v5, v5, v7, vcc
	s_and_b64 vcc, s[2:3], s[16:17]
	v_cndmask_b32_e32 v7, v4, v5, vcc
.LBB39_13:
	s_or_b64 exec, exec, s[14:15]
.LBB39_14:
	s_or_b64 exec, exec, s[12:13]
.LBB39_15:
	s_andn2_saveexec_b64 s[10:11], s[10:11]
	s_cbranch_execz .LBB39_17
; %bb.16:
	v_max_f32_e64 v7, |v1|, |v1|
	v_max_f32_e64 v8, |v0|, |v0|
	v_max_f32_e32 v9, v8, v7
	v_cvt_f64_f32_e32 v[4:5], v9
	v_frexp_exp_i32_f64_e32 v4, v[4:5]
	v_sub_u32_e32 v5, 0, v4
	v_ldexp_f32 v6, |v0|, v5
	v_ldexp_f32 v5, |v1|, v5
	v_mul_f32_e32 v5, v5, v5
	v_fmac_f32_e32 v5, v6, v6
	v_sqrt_f32_e32 v5, v5
	s_mov_b32 s2, 0x7f800000
	v_cmp_neq_f32_e32 vcc, s2, v9
	s_mov_b32 s3, 0x800000
	v_ldexp_f32 v4, v5, v4
	v_mov_b32_e32 v5, 0x7f800000
	v_cndmask_b32_e32 v4, v5, v4, vcc
	v_cmp_gt_f32_e32 vcc, s3, v4
	s_mov_b32 s3, 0x3f317217
	s_movk_i32 s12, 0x204
	v_cndmask_b32_e64 v5, 0, 32, vcc
	v_ldexp_f32 v4, v4, v5
	v_log_f32_e32 v4, v4
	s_nop 0
	v_mul_f32_e32 v5, 0x3f317217, v4
	v_fma_f32 v5, v4, s3, -v5
	v_fmamk_f32 v5, v4, 0x3377d1cf, v5
	v_fmac_f32_e32 v5, 0x3f317217, v4
	v_cmp_lt_f32_e64 s[2:3], |v4|, s2
	s_nop 1
	v_cndmask_b32_e64 v4, v4, v5, s[2:3]
	v_mov_b32_e32 v5, 0x41b17218
	v_cndmask_b32_e32 v5, 0, v5, vcc
	v_sub_f32_e32 v6, v4, v5
	v_frexp_mant_f32_e32 v5, v9
	v_rcp_f32_e32 v5, v5
	v_min_f32_e32 v4, v8, v7
	v_frexp_exp_i32_f32_e32 v7, v9
	v_frexp_exp_i32_f32_e32 v8, v4
	v_frexp_mant_f32_e32 v4, v4
	v_mul_f32_e32 v4, v4, v5
	v_sub_u32_e32 v5, v8, v7
	v_ldexp_f32 v4, v4, v5
	v_mul_f32_e32 v5, v4, v4
	v_mov_b32_e32 v7, 0xbc7a590c
	v_fmac_f32_e32 v7, 0x3b2d2a58, v5
	v_fmaak_f32 v7, v5, v7, 0x3d29fb3f
	v_fmaak_f32 v7, v5, v7, 0xbd97d4d7
	;; [unrolled: 1-line block ×6, first 2 shown]
	v_mul_f32_e32 v5, v5, v7
	v_fmac_f32_e32 v4, v4, v5
	v_sub_f32_e32 v5, 0x3fc90fdb, v4
	v_cndmask_b32_e64 v4, v4, v5, s[0:1]
	v_sub_f32_e32 v5, 0x40490fdb, v4
	v_cmp_gt_f32_e32 vcc, 0, v0
	v_cmp_gt_i32_e64 s[2:3], 0, v0
	v_mov_b32_e32 v7, 0x4016cbe4
	v_cndmask_b32_e32 v4, v4, v5, vcc
	v_mov_b32_e32 v5, 0x40490fdb
	v_cndmask_b32_e64 v5, 0, v5, s[2:3]
	v_cmp_eq_f32_e64 s[2:3], 0, v1
	s_nop 1
	v_cndmask_b32_e64 v4, v4, v5, s[2:3]
	v_mov_b32_e32 v5, 0x3f490fdb
	v_cmp_class_f32_e64 s[2:3], v0, s12
	v_cmp_class_f32_e64 s[12:13], v1, s12
	v_cndmask_b32_e32 v5, v5, v7, vcc
	s_and_b64 vcc, s[2:3], s[12:13]
	v_cndmask_b32_e32 v7, v4, v5, vcc
.LBB39_17:
	s_or_b64 exec, exec, s[10:11]
                                        ; implicit-def: $vgpr4
.LBB39_18:
	s_andn2_saveexec_b64 s[8:9], s[8:9]
	s_cbranch_execz .LBB39_24
; %bb.19:
	s_mov_b32 s2, 0x1fec1e4a
	v_cmp_ngt_f32_e32 vcc, s2, v4
                                        ; implicit-def: $vgpr6
                                        ; implicit-def: $vgpr7
	s_and_saveexec_b64 s[2:3], vcc
	s_xor_b64 s[10:11], exec, s[2:3]
	s_cbranch_execz .LBB39_21
; %bb.20:
	v_pk_mul_f32 v[4:5], v[4:5], v[4:5]
	s_mov_b32 s2, 0x3f2aaaab
	v_add_f32_e32 v7, 1.0, v4
	v_add_f32_e32 v5, -1.0, v7
	v_mov_b32_e32 v6, v5
	v_pk_add_f32 v[8:9], v[4:5], v[6:7] neg_lo:[0,1] neg_hi:[0,1]
	v_frexp_mant_f32_e32 v6, v7
	v_add_f32_e32 v5, 1.0, v9
	v_add_f32_e32 v5, v8, v5
	v_cvt_f64_f32_e32 v[8:9], v7
	v_frexp_exp_i32_f64_e32 v8, v[8:9]
	v_cmp_gt_f32_e32 vcc, s2, v6
	s_mov_b32 s2, 0x3f317218
	s_movk_i32 s12, 0x204
	v_subbrev_co_u32_e32 v14, vcc, 0, v8, vcc
	v_sub_u32_e32 v6, 0, v14
	v_ldexp_f32 v7, v7, v6
	v_ldexp_f32 v5, v5, v6
	v_add_f32_e32 v6, -1.0, v7
	v_add_f32_e32 v9, 1.0, v7
	v_add_f32_e32 v8, 1.0, v6
	v_add_f32_e32 v10, -1.0, v9
	v_sub_f32_e32 v8, v7, v8
	v_sub_f32_e32 v7, v7, v10
	v_add_f32_e32 v8, v5, v8
	v_add_f32_e32 v5, v5, v7
	;; [unrolled: 1-line block ×3, first 2 shown]
	v_rcp_f32_e32 v16, v15
	v_sub_f32_e32 v7, v9, v15
	v_add_f32_e32 v5, v5, v7
	v_add_f32_e32 v7, v6, v8
	v_sub_f32_e32 v6, v6, v7
	v_mul_f32_e32 v18, v7, v16
	v_add_f32_e32 v17, v8, v6
	v_mul_f32_e32 v8, v15, v18
	v_fma_f32 v10, v18, v15, -v8
	v_fmac_f32_e32 v10, v18, v5
	v_add_f32_e32 v6, v8, v10
	v_sub_f32_e32 v9, v7, v6
	v_pk_add_f32 v[12:13], v[6:7], v[8:9] neg_lo:[0,1] neg_hi:[0,1]
	v_mov_b32_e32 v11, v6
	v_pk_add_f32 v[6:7], v[12:13], v[10:11] neg_lo:[0,1] neg_hi:[0,1]
	s_nop 0
	v_add_f32_e32 v7, v17, v7
	v_add_f32_e32 v6, v6, v7
	;; [unrolled: 1-line block ×3, first 2 shown]
	v_mul_f32_e32 v17, v16, v7
	v_mul_f32_e32 v8, v15, v17
	v_fma_f32 v10, v17, v15, -v8
	v_fmac_f32_e32 v10, v17, v5
	v_sub_f32_e32 v5, v9, v7
	v_add_f32_e32 v5, v6, v5
	v_add_f32_e32 v6, v8, v10
	v_sub_f32_e32 v9, v7, v6
	v_pk_add_f32 v[12:13], v[6:7], v[8:9] neg_lo:[0,1] neg_hi:[0,1]
	v_mov_b32_e32 v11, v6
	v_pk_add_f32 v[6:7], v[12:13], v[10:11] neg_lo:[0,1] neg_hi:[0,1]
	v_cvt_f32_i32_e32 v8, v14
	v_add_f32_e32 v5, v5, v7
	v_add_f32_e32 v5, v6, v5
	;; [unrolled: 1-line block ×4, first 2 shown]
	v_sub_f32_e32 v7, v6, v18
	v_mul_f32_e32 v5, v16, v5
	v_sub_f32_e32 v7, v17, v7
	v_add_f32_e32 v5, v7, v5
	v_add_f32_e32 v9, v6, v5
	v_mul_f32_e32 v10, v9, v9
	v_mov_b32_e32 v7, 0x3ecc95a3
	v_fmac_f32_e32 v7, 0x3e9b6dac, v10
	v_sub_f32_e32 v6, v9, v6
	v_fmaak_f32 v7, v10, v7, 0x3f2aaada
	v_sub_f32_e32 v5, v5, v6
	v_ldexp_f32 v11, v9, 1
	v_mul_f32_e32 v9, v9, v10
	v_mov_b32_e32 v6, 0x3f317218
	v_pk_mul_f32 v[6:7], v[8:9], v[6:7]
	v_ldexp_f32 v5, v5, 1
	v_fma_f32 v9, v8, s2, -v6
	v_fmamk_f32 v10, v8, 0xb102e308, v9
	v_pk_add_f32 v[8:9], v[6:7], v[10:11]
	v_mov_b32_e32 v12, v6
	v_sub_f32_e32 v11, v9, v11
	v_sub_f32_e32 v11, v7, v11
	v_add_f32_e32 v13, v5, v11
	v_pk_add_f32 v[6:7], v[8:9], v[6:7] neg_lo:[0,1] neg_hi:[0,1]
	v_pk_add_f32 v[14:15], v[8:9], v[12:13]
	v_mov_b32_e32 v11, v8
	v_mov_b32_e32 v7, v15
	v_pk_add_f32 v[16:17], v[10:11], v[6:7] neg_lo:[0,1] neg_hi:[0,1]
	v_pk_add_f32 v[6:7], v[10:11], v[6:7]
	v_mov_b32_e32 v12, v13
	v_pk_add_f32 v[10:11], v[6:7], v[8:9] op_sel:[1,0] op_sel_hi:[0,1] neg_lo:[0,1] neg_hi:[0,1]
	v_pk_add_f32 v[18:19], v[14:15], v[10:11] op_sel_hi:[1,0] neg_lo:[0,1] neg_hi:[0,1]
	v_mov_b32_e32 v14, v15
	v_mov_b32_e32 v15, v7
	v_pk_mov_b32 v[10:11], v[8:9], v[10:11] op_sel:[1,0]
	v_mov_b32_e32 v13, v8
	v_pk_add_f32 v[10:11], v[14:15], v[10:11] neg_lo:[0,1] neg_hi:[0,1]
	v_mov_b32_e32 v18, v16
	v_pk_add_f32 v[8:9], v[12:13], v[10:11] neg_lo:[0,1] neg_hi:[0,1]
	v_mov_b32_e32 v17, v7
	v_pk_add_f32 v[10:11], v[18:19], v[8:9]
	s_mov_b32 s2, 0x7f800000
	v_pk_add_f32 v[12:13], v[10:11], v[10:11] op_sel:[0,1] op_sel_hi:[1,0]
	v_cmp_neq_f32_e32 vcc, s2, v4
	v_pk_add_f32 v[6:7], v[6:7], v[12:13] op_sel:[1,0] op_sel_hi:[0,1]
	v_mov_b32_e32 v11, v6
	v_pk_add_f32 v[14:15], v[10:11], v[16:17] neg_lo:[0,1] neg_hi:[0,1]
	v_mov_b32_e32 v9, v12
	v_sub_f32_e32 v5, v10, v14
	v_pk_add_f32 v[8:9], v[8:9], v[14:15] neg_lo:[0,1] neg_hi:[0,1]
	v_sub_f32_e32 v5, v16, v5
	v_add_f32_e32 v5, v8, v5
	v_add_f32_e32 v5, v5, v9
	;; [unrolled: 1-line block ×3, first 2 shown]
	v_mov_b32_e32 v6, 0x7f800000
	s_mov_b32 s2, 0x33800000
	v_cndmask_b32_e32 v5, v6, v5, vcc
	v_cmp_lt_f32_e64 vcc, |v4|, s2
	v_cmp_gt_i32_e64 s[2:3], 0, v0
	s_nop 0
	v_cndmask_b32_e32 v4, v5, v4, vcc
	v_mul_f32_e32 v6, 0.5, v4
	v_max_f32_e64 v4, |v1|, |v1|
	v_max_f32_e64 v5, |v0|, |v0|
	v_min_f32_e32 v7, v5, v4
	v_max_f32_e32 v4, v5, v4
	v_frexp_mant_f32_e32 v5, v4
	v_rcp_f32_e32 v5, v5
	v_frexp_exp_i32_f32_e32 v4, v4
	v_frexp_exp_i32_f32_e32 v8, v7
	v_frexp_mant_f32_e32 v7, v7
	v_mul_f32_e32 v5, v7, v5
	v_sub_u32_e32 v4, v8, v4
	v_ldexp_f32 v4, v5, v4
	v_mul_f32_e32 v5, v4, v4
	v_mov_b32_e32 v7, 0xbc7a590c
	v_fmac_f32_e32 v7, 0x3b2d2a58, v5
	v_fmaak_f32 v7, v5, v7, 0x3d29fb3f
	v_fmaak_f32 v7, v5, v7, 0xbd97d4d7
	;; [unrolled: 1-line block ×6, first 2 shown]
	v_mul_f32_e32 v5, v5, v7
	v_fmac_f32_e32 v4, v4, v5
	v_sub_f32_e32 v5, 0x3fc90fdb, v4
	v_cndmask_b32_e64 v4, v4, v5, s[0:1]
	v_sub_f32_e32 v5, 0x40490fdb, v4
	v_cmp_gt_f32_e32 vcc, 0, v0
	v_mov_b32_e32 v7, 0x4016cbe4
	s_nop 0
	v_cndmask_b32_e32 v4, v4, v5, vcc
	v_mov_b32_e32 v5, 0x40490fdb
	v_cndmask_b32_e64 v5, 0, v5, s[2:3]
	v_cmp_eq_f32_e64 s[2:3], 0, v1
	s_nop 1
	v_cndmask_b32_e64 v4, v4, v5, s[2:3]
	v_mov_b32_e32 v5, 0x3f490fdb
	v_cmp_class_f32_e64 s[2:3], v0, s12
	v_cmp_class_f32_e64 s[12:13], v1, s12
	v_cndmask_b32_e32 v5, v5, v7, vcc
	s_and_b64 vcc, s[2:3], s[12:13]
	v_cndmask_b32_e32 v7, v4, v5, vcc
                                        ; implicit-def: $vgpr4
.LBB39_21:
	s_andn2_saveexec_b64 s[10:11], s[10:11]
	s_cbranch_execz .LBB39_23
; %bb.22:
	v_mul_f32_e32 v5, 0.5, v4
	v_mul_f32_e32 v6, v4, v5
	v_max_f32_e64 v4, |v1|, |v1|
	v_max_f32_e64 v5, |v0|, |v0|
	v_min_f32_e32 v7, v5, v4
	v_max_f32_e32 v4, v5, v4
	v_frexp_mant_f32_e32 v5, v4
	v_rcp_f32_e32 v5, v5
	v_frexp_exp_i32_f32_e32 v4, v4
	v_frexp_exp_i32_f32_e32 v8, v7
	v_frexp_mant_f32_e32 v7, v7
	v_mul_f32_e32 v5, v7, v5
	v_sub_u32_e32 v4, v8, v4
	v_ldexp_f32 v4, v5, v4
	v_mul_f32_e32 v5, v4, v4
	v_mov_b32_e32 v7, 0xbc7a590c
	v_fmac_f32_e32 v7, 0x3b2d2a58, v5
	v_fmaak_f32 v7, v5, v7, 0x3d29fb3f
	v_fmaak_f32 v7, v5, v7, 0xbd97d4d7
	;; [unrolled: 1-line block ×6, first 2 shown]
	v_mul_f32_e32 v5, v5, v7
	v_fmac_f32_e32 v4, v4, v5
	v_sub_f32_e32 v5, 0x3fc90fdb, v4
	v_cndmask_b32_e64 v4, v4, v5, s[0:1]
	v_sub_f32_e32 v5, 0x40490fdb, v4
	v_cmp_gt_f32_e32 vcc, 0, v0
	v_cmp_gt_i32_e64 s[2:3], 0, v0
	s_movk_i32 s12, 0x204
	v_cndmask_b32_e32 v4, v4, v5, vcc
	v_mov_b32_e32 v5, 0x40490fdb
	v_cndmask_b32_e64 v5, 0, v5, s[2:3]
	v_cmp_eq_f32_e64 s[2:3], 0, v1
	v_mov_b32_e32 v7, 0x4016cbe4
	s_nop 0
	v_cndmask_b32_e64 v4, v4, v5, s[2:3]
	v_mov_b32_e32 v5, 0x3f490fdb
	v_cmp_class_f32_e64 s[2:3], v0, s12
	v_cmp_class_f32_e64 s[12:13], v1, s12
	v_cndmask_b32_e32 v5, v5, v7, vcc
	s_and_b64 vcc, s[2:3], s[12:13]
	v_cndmask_b32_e32 v7, v4, v5, vcc
.LBB39_23:
	s_or_b64 exec, exec, s[10:11]
.LBB39_24:
	s_or_b64 exec, exec, s[8:9]
.LBB39_25:
	s_andn2_saveexec_b64 s[6:7], s[6:7]
	s_cbranch_execz .LBB39_27
; %bb.26:
	s_mov_b32 s8, 0x402df854
	v_div_scale_f32 v4, s[2:3], s8, s8, v0
	v_rcp_f32_e32 v5, v4
	v_div_scale_f32 v6, vcc, v0, s8, v0
	v_fma_f32 v7, -v4, v5, 1.0
	v_fmac_f32_e32 v5, v7, v5
	v_mul_f32_e32 v7, v6, v5
	v_fma_f32 v8, -v4, v7, v6
	v_fmac_f32_e32 v7, v8, v5
	v_fma_f32 v4, -v4, v7, v6
	v_div_scale_f32 v6, s[2:3], s8, s8, v1
	v_rcp_f32_e32 v8, v6
	v_div_fmas_f32 v4, v4, v5, v7
	v_div_fixup_f32 v7, v4, s8, v0
	s_mov_b32 s2, 0x7f800000
	v_fma_f32 v4, -v6, v8, 1.0
	v_fmac_f32_e32 v8, v4, v8
	v_div_scale_f32 v4, vcc, v1, s8, v1
	v_mul_f32_e32 v5, v4, v8
	v_fma_f32 v9, -v6, v5, v4
	v_fmac_f32_e32 v5, v9, v8
	v_fma_f32 v4, -v6, v5, v4
	v_div_fmas_f32 v4, v4, v8, v5
	v_div_fixup_f32 v6, v4, s8, v1
	v_max_f32_e64 v8, |v7|, |v6|
	v_cvt_f64_f32_e32 v[4:5], v8
	v_frexp_exp_i32_f64_e32 v4, v[4:5]
	v_sub_u32_e32 v5, 0, v4
	v_ldexp_f32 v7, |v7|, v5
	v_ldexp_f32 v5, |v6|, v5
	v_mul_f32_e32 v5, v5, v5
	v_fmac_f32_e32 v5, v7, v7
	v_sqrt_f32_e32 v5, v5
	v_cmp_neq_f32_e32 vcc, s2, v8
	s_mov_b32 s3, 0x800000
	v_ldexp_f32 v4, v5, v4
	v_mov_b32_e32 v5, 0x7f800000
	v_cndmask_b32_e32 v4, v5, v4, vcc
	v_cmp_gt_f32_e32 vcc, s3, v4
	s_mov_b32 s3, 0x3f317217
	s_nop 0
	v_cndmask_b32_e64 v5, 0, 32, vcc
	v_ldexp_f32 v4, v4, v5
	v_log_f32_e32 v4, v4
	s_nop 0
	v_mul_f32_e32 v5, 0x3f317217, v4
	v_fma_f32 v5, v4, s3, -v5
	v_fmamk_f32 v5, v4, 0x3377d1cf, v5
	v_fmac_f32_e32 v5, 0x3f317217, v4
	v_cmp_lt_f32_e64 s[2:3], |v4|, s2
	s_nop 1
	v_cndmask_b32_e64 v4, v4, v5, s[2:3]
	v_mov_b32_e32 v5, 0x41b17218
	v_cndmask_b32_e32 v5, 0, v5, vcc
	v_sub_f32_e32 v4, v4, v5
	v_add_f32_e32 v6, 1.0, v4
	v_max_f32_e64 v4, |v1|, |v1|
	v_max_f32_e64 v5, |v0|, |v0|
	v_min_f32_e32 v7, v5, v4
	v_max_f32_e32 v4, v5, v4
	v_frexp_mant_f32_e32 v5, v4
	v_rcp_f32_e32 v5, v5
	v_frexp_exp_i32_f32_e32 v4, v4
	v_frexp_exp_i32_f32_e32 v8, v7
	v_frexp_mant_f32_e32 v7, v7
	v_mul_f32_e32 v5, v7, v5
	v_sub_u32_e32 v4, v8, v4
	v_ldexp_f32 v4, v5, v4
	v_mul_f32_e32 v5, v4, v4
	v_mov_b32_e32 v7, 0xbc7a590c
	v_fmac_f32_e32 v7, 0x3b2d2a58, v5
	v_fmaak_f32 v7, v5, v7, 0x3d29fb3f
	v_fmaak_f32 v7, v5, v7, 0xbd97d4d7
	;; [unrolled: 1-line block ×6, first 2 shown]
	v_mul_f32_e32 v5, v5, v7
	v_fmac_f32_e32 v4, v4, v5
	v_sub_f32_e32 v5, 0x3fc90fdb, v4
	v_cndmask_b32_e64 v4, v4, v5, s[0:1]
	v_sub_f32_e32 v5, 0x40490fdb, v4
	v_cmp_gt_f32_e32 vcc, 0, v0
	v_cmp_gt_i32_e64 s[0:1], 0, v0
	s_movk_i32 s2, 0x204
	v_cndmask_b32_e32 v4, v4, v5, vcc
	v_mov_b32_e32 v5, 0x40490fdb
	v_cndmask_b32_e64 v5, 0, v5, s[0:1]
	v_cmp_eq_f32_e64 s[0:1], 0, v1
	v_mov_b32_e32 v7, 0x4016cbe4
	s_nop 0
	v_cndmask_b32_e64 v4, v4, v5, s[0:1]
	v_mov_b32_e32 v5, 0x3f490fdb
	v_cmp_class_f32_e64 s[0:1], v0, s2
	v_cmp_class_f32_e64 s[2:3], v1, s2
	v_cndmask_b32_e32 v5, v5, v7, vcc
	s_and_b64 vcc, s[0:1], s[2:3]
	v_cndmask_b32_e32 v7, v4, v5, vcc
.LBB39_27:
	s_or_b64 exec, exec, s[6:7]
.LBB39_28:
	s_andn2_saveexec_b64 s[2:3], s[4:5]
	s_cbranch_execz .LBB39_34
; %bb.29:
	s_brev_b32 s4, 4
	v_cmp_nlt_f32_e64 s[0:1], |v0|, s4
	v_cmp_nlt_f32_e64 s[4:5], |v1|, s4
	s_or_b64 s[0:1], s[0:1], s[4:5]
                                        ; implicit-def: $vgpr4
	s_and_saveexec_b64 s[4:5], s[0:1]
	s_xor_b64 s[0:1], exec, s[4:5]
; %bb.30:
	v_pk_mul_f32 v[4:5], v[0:1], v[0:1]
	s_nop 0
	v_add_f32_e32 v4, v4, v5
; %bb.31:
	s_andn2_saveexec_b64 s[0:1], s[0:1]
; %bb.32:
	v_pk_mul_f32 v[4:5], v[0:1], 4.0 op_sel_hi:[1,0]
	s_nop 0
	v_pk_mul_f32 v[4:5], v[4:5], v[4:5]
	s_nop 0
	v_add_f32_e32 v0, v4, v5
	v_mul_f32_e32 v4, 0x3d800000, v0
; %bb.33:
	s_or_b64 exec, exec, s[0:1]
	s_mov_b32 s0, 0x800000
	v_cmp_gt_f32_e32 vcc, s0, v4
	s_mov_b32 s0, 0x3f317217
	s_mov_b32 s1, 0x7f800000
	v_cndmask_b32_e64 v0, 0, 32, vcc
	v_ldexp_f32 v0, v4, v0
	v_log_f32_e32 v0, v0
	v_mov_b32_e32 v7, 0x7fc00000
	v_mul_f32_e32 v4, 0x3f317217, v0
	v_fma_f32 v4, v0, s0, -v4
	v_fmamk_f32 v4, v0, 0x3377d1cf, v4
	v_fmac_f32_e32 v4, 0x3f317217, v0
	v_cmp_lt_f32_e64 s[0:1], |v0|, s1
	s_nop 1
	v_cndmask_b32_e64 v0, v0, v4, s[0:1]
	v_mov_b32_e32 v4, 0x41b17218
	v_cndmask_b32_e32 v4, 0, v4, vcc
	v_sub_f32_e32 v6, v0, v4
.LBB39_34:
	s_or_b64 exec, exec, s[2:3]
	s_brev_b32 s0, -2
	v_bfi_b32 v0, s0, v7, v1
	v_mul_f32_e32 v1, v3, v6
	v_mul_f32_e64 v4, v3, -v0
	v_fmac_f32_e32 v1, v2, v0
	v_fmac_f32_e32 v4, v2, v6
	v_and_b32_e32 v2, 0x7fffffff, v1
	v_cmp_ne_u32_e32 vcc, 0, v2
                                        ; implicit-def: $vgpr0
	s_and_saveexec_b64 s[0:1], vcc
	s_xor_b64 s[6:7], exec, s[0:1]
	s_cbranch_execz .LBB39_40
; %bb.35:
	v_and_b32_e32 v3, 0x7fffffff, v4
	v_cmp_ne_u32_e32 vcc, 0, v3
                                        ; implicit-def: $vgpr0
	s_and_saveexec_b64 s[0:1], vcc
	s_xor_b64 s[8:9], exec, s[0:1]
	s_cbranch_execz .LBB39_67
; %bb.36:
	s_mov_b32 s0, 0x7f800000
	v_cmp_gt_u32_e32 vcc, s0, v2
                                        ; implicit-def: $vgpr0
	s_and_saveexec_b64 s[0:1], vcc
	s_xor_b64 s[10:11], exec, s[0:1]
	s_cbranch_execz .LBB39_60
; %bb.37:
	v_add_u32_e32 v0, 0xbd4e8de8, v4
	s_mov_b32 s0, 0x8e8e5c
	v_cmp_lt_u32_e32 vcc, s0, v0
                                        ; implicit-def: $vgpr0
	s_and_saveexec_b64 s[0:1], vcc
	s_xor_b64 s[12:13], exec, s[0:1]
	s_cbranch_execz .LBB39_49
; %bb.38:
	s_brev_b32 s0, 18
	v_cmp_nlt_f32_e64 s[14:15], |v1|, s0
                                        ; implicit-def: $vgpr0
                                        ; implicit-def: $vgpr3
	s_and_saveexec_b64 s[0:1], s[14:15]
	s_xor_b64 s[16:17], exec, s[0:1]
	s_cbranch_execz .LBB39_42
; %bb.39:
	v_lshrrev_b32_e32 v0, 23, v2
	v_add_u32_e32 v0, 0xffffff88, v0
	v_not_b32_e32 v3, 63
	v_cmp_lt_u32_e32 vcc, 63, v0
	s_mov_b32 s4, 0xfe5163ab
	v_mov_b32_e32 v9, 0
	v_cndmask_b32_e32 v3, 0, v3, vcc
	v_add_u32_e32 v0, v3, v0
	v_not_b32_e32 v3, 31
	v_cmp_lt_u32_e64 s[0:1], 31, v0
	s_nop 1
	v_cndmask_b32_e64 v5, 0, v3, s[0:1]
	v_add_u32_e32 v0, v5, v0
	v_cmp_lt_u32_e64 s[2:3], 31, v0
	s_nop 1
	v_cndmask_b32_e64 v3, 0, v3, s[2:3]
	v_add_u32_e32 v0, v3, v0
	v_and_b32_e32 v3, 0x7fffff, v2
	v_or_b32_e32 v3, 0x800000, v3
	v_mad_u64_u32 v[6:7], s[4:5], v3, s4, 0
	v_mov_b32_e32 v8, v7
	s_mov_b32 s4, 0x3c439041
	v_mad_u64_u32 v[10:11], s[4:5], v3, s4, v[8:9]
	v_mov_b32_e32 v8, v11
	s_mov_b32 s4, 0xdb629599
	;; [unrolled: 3-line block ×6, first 2 shown]
	v_mad_u64_u32 v[8:9], s[4:5], v3, s4, v[8:9]
	v_cndmask_b32_e32 v5, v18, v14, vcc
	v_cndmask_b32_e32 v3, v8, v16, vcc
	;; [unrolled: 1-line block ×3, first 2 shown]
	v_cndmask_b32_e64 v7, v3, v5, s[0:1]
	v_cndmask_b32_e64 v3, v8, v3, s[0:1]
	v_cndmask_b32_e32 v8, v16, v12, vcc
	v_cndmask_b32_e64 v5, v5, v8, s[0:1]
	v_cndmask_b32_e64 v3, v3, v7, s[2:3]
	;; [unrolled: 1-line block ×3, first 2 shown]
	v_sub_u32_e32 v9, 32, v0
	v_alignbit_b32 v11, v3, v7, v9
	v_cmp_eq_u32_e64 s[4:5], 0, v0
	v_cndmask_b32_e32 v6, v12, v6, vcc
	s_nop 0
	v_cndmask_b32_e64 v0, v11, v3, s[4:5]
	v_cndmask_b32_e32 v3, v14, v10, vcc
	v_cndmask_b32_e64 v8, v8, v3, s[0:1]
	v_cndmask_b32_e64 v5, v5, v8, s[2:3]
	v_alignbit_b32 v10, v7, v5, v9
	v_cndmask_b32_e64 v3, v3, v6, s[0:1]
	v_cndmask_b32_e64 v7, v10, v7, s[4:5]
	v_bfe_u32 v13, v0, 29, 1
	v_cndmask_b32_e64 v3, v8, v3, s[2:3]
	v_alignbit_b32 v10, v0, v7, 30
	v_sub_u32_e32 v14, 0, v13
	v_alignbit_b32 v6, v5, v3, v9
	v_xor_b32_e32 v10, v10, v14
	v_cndmask_b32_e64 v5, v6, v5, s[4:5]
	v_alignbit_b32 v6, v7, v5, 30
	v_ffbh_u32_e32 v7, v10
	v_min_u32_e32 v7, 32, v7
	v_alignbit_b32 v3, v5, v3, 30
	v_xor_b32_e32 v6, v6, v14
	v_sub_u32_e32 v8, 31, v7
	v_xor_b32_e32 v3, v3, v14
	v_alignbit_b32 v9, v10, v6, v8
	v_alignbit_b32 v3, v6, v3, v8
	;; [unrolled: 1-line block ×3, first 2 shown]
	v_ffbh_u32_e32 v6, v5
	v_min_u32_e32 v6, 32, v6
	v_lshrrev_b32_e32 v11, 29, v0
	v_not_b32_e32 v8, v6
	v_alignbit_b32 v3, v5, v3, v8
	v_lshlrev_b32_e32 v5, 31, v11
	v_or_b32_e32 v8, 0x33000000, v5
	v_add_lshl_u32 v6, v6, v7, 23
	v_lshrrev_b32_e32 v3, 9, v3
	v_sub_u32_e32 v6, v8, v6
	v_or_b32_e32 v5, 0.5, v5
	v_lshlrev_b32_e32 v7, 23, v7
	v_or_b32_e32 v3, v6, v3
	v_lshrrev_b32_e32 v6, 9, v9
	v_sub_u32_e32 v5, v5, v7
	v_or_b32_e32 v5, v6, v5
	s_mov_b32 s0, 0x3fc90fda
	v_mul_f32_e32 v6, 0x3fc90fda, v5
	v_fma_f32 v7, v5, s0, -v6
	v_fmamk_f32 v5, v5, 0x33a22168, v7
	v_fmac_f32_e32 v5, 0x3fc90fda, v3
	v_lshrrev_b32_e32 v0, 30, v0
	v_add_f32_e32 v3, v6, v5
	v_add_u32_e32 v0, v13, v0
	s_andn2_saveexec_b64 s[0:1], s[16:17]
	s_cbranch_execz .LBB39_44
	s_branch .LBB39_43
.LBB39_40:
	s_andn2_saveexec_b64 s[0:1], s[6:7]
	s_cbranch_execz .LBB39_78
.LBB39_41:
	v_mul_f32_e32 v0, 0x3fb8aa3b, v4
	s_mov_b32 s2, 0x3fb8aa3b
	v_rndne_f32_e32 v2, v0
	v_sub_f32_e32 v3, v0, v2
	v_fma_f32 v0, v4, s2, -v0
	v_fmamk_f32 v0, v4, 0x32a5705f, v0
	v_add_f32_e32 v0, v3, v0
	v_exp_f32_e32 v0, v0
	v_cvt_i32_f32_e32 v2, v2
	s_mov_b32 s2, 0xc2ce8ed0
	v_cmp_ngt_f32_e32 vcc, s2, v4
	s_mov_b32 s2, 0x42b17218
	v_ldexp_f32 v0, v0, v2
	v_cndmask_b32_e32 v0, 0, v0, vcc
	v_mov_b32_e32 v2, 0x7f800000
	v_cmp_nlt_f32_e32 vcc, s2, v4
	s_nop 1
	v_cndmask_b32_e32 v0, v2, v0, vcc
	s_or_b64 exec, exec, s[0:1]
	s_setpc_b64 s[30:31]
.LBB39_42:
	s_andn2_saveexec_b64 s[0:1], s[16:17]
	s_cbranch_execz .LBB39_44
.LBB39_43:
	s_mov_b32 s2, 0x3f22f983
	v_mul_f32_e64 v0, |v1|, s2
	v_rndne_f32_e32 v3, v0
	s_mov_b32 s2, 0xbfc90fda
	v_cvt_i32_f32_e32 v0, v3
	v_fma_f32 v5, v3, s2, |v1|
	v_fmamk_f32 v5, v3, 0xb3a22168, v5
	v_fmamk_f32 v3, v3, 0xa7c234c4, v5
.LBB39_44:
	s_or_b64 exec, exec, s[0:1]
                                        ; implicit-def: $vgpr5
                                        ; implicit-def: $vgpr6
	s_and_saveexec_b64 s[0:1], s[14:15]
	s_xor_b64 s[14:15], exec, s[0:1]
	s_cbranch_execz .LBB39_46
; %bb.45:
	v_lshrrev_b32_e32 v5, 23, v2
	v_add_u32_e32 v5, 0xffffff88, v5
	v_not_b32_e32 v6, 63
	v_cmp_lt_u32_e32 vcc, 63, v5
	s_mov_b32 s4, 0xfe5163ab
	v_mov_b32_e32 v9, 0
	v_cndmask_b32_e32 v6, 0, v6, vcc
	v_add_u32_e32 v5, v6, v5
	v_not_b32_e32 v6, 31
	v_cmp_lt_u32_e64 s[0:1], 31, v5
	s_nop 1
	v_cndmask_b32_e64 v7, 0, v6, s[0:1]
	v_add_u32_e32 v5, v7, v5
	v_cmp_lt_u32_e64 s[2:3], 31, v5
	s_nop 1
	v_cndmask_b32_e64 v6, 0, v6, s[2:3]
	v_add_u32_e32 v5, v6, v5
	v_and_b32_e32 v6, 0x7fffff, v2
	v_or_b32_e32 v20, 0x800000, v6
	v_mad_u64_u32 v[6:7], s[4:5], v20, s4, 0
	v_mov_b32_e32 v8, v7
	s_mov_b32 s4, 0x3c439041
	v_mad_u64_u32 v[10:11], s[4:5], v20, s4, v[8:9]
	v_mov_b32_e32 v8, v11
	s_mov_b32 s4, 0xdb629599
	;; [unrolled: 3-line block ×6, first 2 shown]
	v_mad_u64_u32 v[8:9], s[4:5], v20, s4, v[8:9]
	v_cndmask_b32_e32 v7, v18, v14, vcc
	v_cndmask_b32_e32 v8, v8, v16, vcc
	;; [unrolled: 1-line block ×3, first 2 shown]
	v_cndmask_b32_e64 v11, v8, v7, s[0:1]
	v_cndmask_b32_e64 v8, v9, v8, s[0:1]
	v_cndmask_b32_e32 v9, v16, v12, vcc
	v_cndmask_b32_e64 v7, v7, v9, s[0:1]
	v_cndmask_b32_e64 v8, v8, v11, s[2:3]
	;; [unrolled: 1-line block ×3, first 2 shown]
	v_sub_u32_e32 v13, 32, v5
	v_alignbit_b32 v15, v8, v11, v13
	v_cmp_eq_u32_e64 s[4:5], 0, v5
	v_cndmask_b32_e32 v6, v12, v6, vcc
	s_nop 0
	v_cndmask_b32_e64 v5, v15, v8, s[4:5]
	v_cndmask_b32_e32 v8, v14, v10, vcc
	v_cndmask_b32_e64 v9, v9, v8, s[0:1]
	v_cndmask_b32_e64 v7, v7, v9, s[2:3]
	v_alignbit_b32 v10, v11, v7, v13
	v_cndmask_b32_e64 v10, v10, v11, s[4:5]
	v_bfe_u32 v15, v5, 29, 1
	v_cndmask_b32_e64 v6, v8, v6, s[0:1]
	v_alignbit_b32 v11, v5, v10, 30
	v_sub_u32_e32 v16, 0, v15
	v_cndmask_b32_e64 v6, v9, v6, s[2:3]
	v_xor_b32_e32 v11, v11, v16
	v_alignbit_b32 v8, v7, v6, v13
	v_cndmask_b32_e64 v7, v8, v7, s[4:5]
	v_ffbh_u32_e32 v9, v11
	v_alignbit_b32 v8, v10, v7, 30
	v_min_u32_e32 v9, 32, v9
	v_alignbit_b32 v6, v7, v6, 30
	v_xor_b32_e32 v8, v8, v16
	v_sub_u32_e32 v10, 31, v9
	v_xor_b32_e32 v6, v6, v16
	v_alignbit_b32 v11, v11, v8, v10
	v_alignbit_b32 v6, v8, v6, v10
	;; [unrolled: 1-line block ×3, first 2 shown]
	v_ffbh_u32_e32 v8, v7
	v_min_u32_e32 v8, 32, v8
	v_lshrrev_b32_e32 v14, 29, v5
	v_not_b32_e32 v10, v8
	v_alignbit_b32 v6, v7, v6, v10
	v_lshlrev_b32_e32 v7, 31, v14
	v_or_b32_e32 v10, 0x33000000, v7
	v_add_lshl_u32 v8, v8, v9, 23
	v_lshrrev_b32_e32 v6, 9, v6
	v_sub_u32_e32 v8, v10, v8
	v_or_b32_e32 v7, 0.5, v7
	v_lshlrev_b32_e32 v9, 23, v9
	v_or_b32_e32 v6, v8, v6
	v_lshrrev_b32_e32 v8, 9, v11
	v_sub_u32_e32 v7, v7, v9
	v_or_b32_e32 v7, v8, v7
	s_mov_b32 s0, 0x3fc90fda
	v_mul_f32_e32 v8, 0x3fc90fda, v7
	v_fma_f32 v9, v7, s0, -v8
	v_fmamk_f32 v7, v7, 0x33a22168, v9
	v_fmac_f32_e32 v7, 0x3fc90fda, v6
	v_lshrrev_b32_e32 v5, 30, v5
	v_add_f32_e32 v6, v8, v7
	v_add_u32_e32 v5, v15, v5
	s_andn2_saveexec_b64 s[0:1], s[14:15]
	s_cbranch_execnz .LBB39_47
	s_branch .LBB39_48
.LBB39_46:
	s_andn2_saveexec_b64 s[0:1], s[14:15]
	s_cbranch_execz .LBB39_48
.LBB39_47:
	s_mov_b32 s2, 0x3f22f983
	v_mul_f32_e64 v5, |v1|, s2
	v_rndne_f32_e32 v6, v5
	s_mov_b32 s2, 0xbfc90fda
	v_cvt_i32_f32_e32 v5, v6
	v_fma_f32 v7, v6, s2, |v1|
	v_fmamk_f32 v7, v6, 0xb3a22168, v7
	v_fmamk_f32 v6, v6, 0xa7c234c4, v7
.LBB39_48:
	s_or_b64 exec, exec, s[0:1]
	v_mul_f32_e32 v7, 0x3fb8aa3b, v4
	s_mov_b32 s0, 0x3fb8aa3b
	v_rndne_f32_e32 v8, v7
	v_sub_f32_e32 v9, v7, v8
	v_fma_f32 v7, v4, s0, -v7
	v_fmamk_f32 v7, v4, 0x32a5705f, v7
	v_add_f32_e32 v7, v9, v7
	v_exp_f32_e32 v7, v7
	v_cvt_i32_f32_e32 v8, v8
	s_mov_b32 s0, 0xc2ce8ed0
	v_cmp_ngt_f32_e32 vcc, s0, v4
	s_mov_b32 s0, 0x42b17218
	v_ldexp_f32 v7, v7, v8
	v_cndmask_b32_e32 v7, 0, v7, vcc
	v_mov_b32_e32 v8, 0x7f800000
	v_cmp_nlt_f32_e32 vcc, s0, v4
	v_mov_b32_e32 v10, 0xbe2aaa9d
	v_mov_b32_e32 v12, 0x3d2aabf7
	v_cndmask_b32_e32 v4, v8, v7, vcc
	v_mul_f32_e32 v7, v3, v3
	v_mov_b32_e32 v8, 0x3c0881c4
	v_fmamk_f32 v9, v7, 0xb94c1982, v8
	v_fmaak_f32 v9, v7, v9, 0xbe2aaa9d
	v_mul_f32_e32 v9, v7, v9
	v_fmac_f32_e32 v3, v3, v9
	v_mov_b32_e32 v9, 0xbab64f3b
	v_fmamk_f32 v11, v7, 0x37d75334, v9
	v_fmaak_f32 v11, v7, v11, 0x3d2aabf7
	v_fmaak_f32 v11, v7, v11, 0xbf000004
	v_fma_f32 v7, v7, v11, 1.0
	v_and_b32_e32 v11, 1, v0
	v_cmp_eq_u32_e32 vcc, 0, v11
	v_mov_b32_e32 v13, 0xbf000004
	v_lshlrev_b32_e32 v0, 30, v0
	v_cndmask_b32_e64 v3, -v3, v7, vcc
	v_mul_f32_e32 v7, v6, v6
	v_fmac_f32_e32 v8, 0xb94c1982, v7
	v_fmac_f32_e32 v10, v7, v8
	;; [unrolled: 1-line block ×3, first 2 shown]
	s_brev_b32 s0, 1
	v_mul_f32_e32 v8, v7, v10
	v_fmac_f32_e32 v12, v7, v9
	v_bitop3_b32 v0, v0, v3, s0 bitop3:0x6c
	s_movk_i32 s0, 0x1f8
	v_fmac_f32_e32 v6, v6, v8
	v_fmac_f32_e32 v13, v7, v12
	v_and_b32_e32 v8, 1, v5
	v_cmp_class_f32_e64 vcc, v1, s0
	v_fma_f32 v7, v7, v13, 1.0
	v_cmp_eq_u32_e64 s[0:1], 0, v8
	v_lshlrev_b32_e32 v5, 30, v5
	v_and_b32_e32 v5, 0x80000000, v5
	v_cndmask_b32_e64 v6, v7, v6, s[0:1]
	v_bitop3_b32 v2, v5, v6, v2 bitop3:0x36
	v_mov_b32_e32 v3, 0x7fc00000
	v_xor_b32_e32 v1, v2, v1
	v_cndmask_b32_e32 v0, v3, v0, vcc
	v_cndmask_b32_e32 v1, v3, v1, vcc
	v_mul_f32_e32 v0, v4, v0
	v_mul_f32_e32 v1, v4, v1
                                        ; implicit-def: $vgpr4
                                        ; implicit-def: $vgpr2
.LBB39_49:
	s_andn2_saveexec_b64 s[12:13], s[12:13]
	s_cbranch_execz .LBB39_52
; %bb.50:
	s_brev_b32 s0, 18
	v_cmp_nlt_f32_e64 s[14:15], |v1|, s0
                                        ; implicit-def: $vgpr3
                                        ; implicit-def: $vgpr0
	s_and_saveexec_b64 s[0:1], s[14:15]
	s_xor_b64 s[16:17], exec, s[0:1]
	s_cbranch_execz .LBB39_53
; %bb.51:
	v_lshrrev_b32_e32 v0, 23, v2
	v_add_u32_e32 v0, 0xffffff88, v0
	v_not_b32_e32 v3, 63
	v_cmp_lt_u32_e32 vcc, 63, v0
	s_mov_b32 s4, 0xfe5163ab
	v_mov_b32_e32 v9, 0
	v_cndmask_b32_e32 v3, 0, v3, vcc
	v_add_u32_e32 v0, v3, v0
	v_not_b32_e32 v3, 31
	v_cmp_lt_u32_e64 s[0:1], 31, v0
	s_nop 1
	v_cndmask_b32_e64 v5, 0, v3, s[0:1]
	v_add_u32_e32 v0, v5, v0
	v_cmp_lt_u32_e64 s[2:3], 31, v0
	s_nop 1
	v_cndmask_b32_e64 v3, 0, v3, s[2:3]
	v_add_u32_e32 v0, v3, v0
	v_and_b32_e32 v3, 0x7fffff, v2
	v_or_b32_e32 v3, 0x800000, v3
	v_mad_u64_u32 v[6:7], s[4:5], v3, s4, 0
	v_mov_b32_e32 v8, v7
	s_mov_b32 s4, 0x3c439041
	v_mad_u64_u32 v[10:11], s[4:5], v3, s4, v[8:9]
	v_mov_b32_e32 v8, v11
	s_mov_b32 s4, 0xdb629599
	;; [unrolled: 3-line block ×6, first 2 shown]
	v_mad_u64_u32 v[8:9], s[4:5], v3, s4, v[8:9]
	v_cndmask_b32_e32 v5, v18, v14, vcc
	v_cndmask_b32_e32 v3, v8, v16, vcc
	;; [unrolled: 1-line block ×3, first 2 shown]
	v_cndmask_b32_e64 v7, v3, v5, s[0:1]
	v_cndmask_b32_e64 v3, v8, v3, s[0:1]
	v_cndmask_b32_e32 v8, v16, v12, vcc
	v_cndmask_b32_e64 v5, v5, v8, s[0:1]
	v_sub_u32_e32 v9, 32, v0
	v_cmp_eq_u32_e64 s[4:5], 0, v0
	v_cndmask_b32_e32 v0, v14, v10, vcc
	v_cndmask_b32_e64 v3, v3, v7, s[2:3]
	v_cndmask_b32_e64 v7, v7, v5, s[2:3]
	;; [unrolled: 1-line block ×3, first 2 shown]
	v_alignbit_b32 v11, v3, v7, v9
	v_cndmask_b32_e64 v5, v5, v8, s[2:3]
	v_cndmask_b32_e32 v6, v12, v6, vcc
	v_cndmask_b32_e64 v3, v11, v3, s[4:5]
	v_alignbit_b32 v10, v7, v5, v9
	v_cndmask_b32_e64 v0, v0, v6, s[0:1]
	v_cndmask_b32_e64 v7, v10, v7, s[4:5]
	v_bfe_u32 v13, v3, 29, 1
	v_cndmask_b32_e64 v0, v8, v0, s[2:3]
	v_alignbit_b32 v10, v3, v7, 30
	v_sub_u32_e32 v14, 0, v13
	v_alignbit_b32 v6, v5, v0, v9
	v_xor_b32_e32 v10, v10, v14
	v_cndmask_b32_e64 v5, v6, v5, s[4:5]
	v_alignbit_b32 v6, v7, v5, 30
	v_ffbh_u32_e32 v7, v10
	v_min_u32_e32 v7, 32, v7
	v_alignbit_b32 v0, v5, v0, 30
	v_xor_b32_e32 v6, v6, v14
	v_sub_u32_e32 v8, 31, v7
	v_xor_b32_e32 v0, v0, v14
	v_alignbit_b32 v9, v10, v6, v8
	v_alignbit_b32 v0, v6, v0, v8
	;; [unrolled: 1-line block ×3, first 2 shown]
	v_ffbh_u32_e32 v6, v5
	v_min_u32_e32 v6, 32, v6
	v_lshrrev_b32_e32 v11, 29, v3
	v_not_b32_e32 v8, v6
	v_alignbit_b32 v0, v5, v0, v8
	v_lshlrev_b32_e32 v5, 31, v11
	v_or_b32_e32 v8, 0x33000000, v5
	v_add_lshl_u32 v6, v6, v7, 23
	v_lshrrev_b32_e32 v0, 9, v0
	v_sub_u32_e32 v6, v8, v6
	v_or_b32_e32 v5, 0.5, v5
	v_lshlrev_b32_e32 v7, 23, v7
	v_or_b32_e32 v0, v6, v0
	v_lshrrev_b32_e32 v6, 9, v9
	v_sub_u32_e32 v5, v5, v7
	v_or_b32_e32 v5, v6, v5
	s_mov_b32 s0, 0x3fc90fda
	v_mul_f32_e32 v6, 0x3fc90fda, v5
	v_fma_f32 v7, v5, s0, -v6
	v_fmamk_f32 v5, v5, 0x33a22168, v7
	v_fmac_f32_e32 v5, 0x3fc90fda, v0
	v_lshrrev_b32_e32 v3, 30, v3
	v_add_f32_e32 v0, v6, v5
	v_add_u32_e32 v3, v13, v3
	s_andn2_saveexec_b64 s[0:1], s[16:17]
	s_cbranch_execz .LBB39_55
	s_branch .LBB39_54
.LBB39_52:
	s_or_b64 exec, exec, s[12:13]
                                        ; implicit-def: $vgpr4
                                        ; implicit-def: $vgpr3
	s_andn2_saveexec_b64 s[0:1], s[10:11]
	s_cbranch_execnz .LBB39_61
	s_branch .LBB39_66
.LBB39_53:
	s_andn2_saveexec_b64 s[0:1], s[16:17]
	s_cbranch_execz .LBB39_55
.LBB39_54:
	s_mov_b32 s2, 0x3f22f983
	v_mul_f32_e64 v0, |v1|, s2
	v_rndne_f32_e32 v0, v0
	s_mov_b32 s2, 0xbfc90fda
	v_cvt_i32_f32_e32 v3, v0
	v_fma_f32 v5, v0, s2, |v1|
	v_fmamk_f32 v5, v0, 0xb3a22168, v5
	v_fmamk_f32 v0, v0, 0xa7c234c4, v5
.LBB39_55:
	s_or_b64 exec, exec, s[0:1]
                                        ; implicit-def: $vgpr5
                                        ; implicit-def: $vgpr6
	s_and_saveexec_b64 s[0:1], s[14:15]
	s_xor_b64 s[14:15], exec, s[0:1]
	s_cbranch_execz .LBB39_57
; %bb.56:
	v_lshrrev_b32_e32 v5, 23, v2
	v_add_u32_e32 v5, 0xffffff88, v5
	v_not_b32_e32 v6, 63
	v_cmp_lt_u32_e32 vcc, 63, v5
	s_mov_b32 s4, 0xfe5163ab
	v_mov_b32_e32 v9, 0
	v_cndmask_b32_e32 v6, 0, v6, vcc
	v_add_u32_e32 v5, v6, v5
	v_not_b32_e32 v6, 31
	v_cmp_lt_u32_e64 s[0:1], 31, v5
	s_nop 1
	v_cndmask_b32_e64 v7, 0, v6, s[0:1]
	v_add_u32_e32 v5, v7, v5
	v_cmp_lt_u32_e64 s[2:3], 31, v5
	s_nop 1
	v_cndmask_b32_e64 v6, 0, v6, s[2:3]
	v_add_u32_e32 v5, v6, v5
	v_and_b32_e32 v6, 0x7fffff, v2
	v_or_b32_e32 v20, 0x800000, v6
	v_mad_u64_u32 v[6:7], s[4:5], v20, s4, 0
	v_mov_b32_e32 v8, v7
	s_mov_b32 s4, 0x3c439041
	v_mad_u64_u32 v[10:11], s[4:5], v20, s4, v[8:9]
	v_mov_b32_e32 v8, v11
	s_mov_b32 s4, 0xdb629599
	;; [unrolled: 3-line block ×6, first 2 shown]
	v_mad_u64_u32 v[8:9], s[4:5], v20, s4, v[8:9]
	v_cndmask_b32_e32 v7, v18, v14, vcc
	v_cndmask_b32_e32 v8, v8, v16, vcc
	;; [unrolled: 1-line block ×3, first 2 shown]
	v_cndmask_b32_e64 v11, v8, v7, s[0:1]
	v_cndmask_b32_e64 v8, v9, v8, s[0:1]
	v_cndmask_b32_e32 v9, v16, v12, vcc
	v_cndmask_b32_e64 v7, v7, v9, s[0:1]
	v_cndmask_b32_e64 v8, v8, v11, s[2:3]
	;; [unrolled: 1-line block ×3, first 2 shown]
	v_sub_u32_e32 v13, 32, v5
	v_alignbit_b32 v15, v8, v11, v13
	v_cmp_eq_u32_e64 s[4:5], 0, v5
	v_cndmask_b32_e32 v6, v12, v6, vcc
	s_nop 0
	v_cndmask_b32_e64 v5, v15, v8, s[4:5]
	v_cndmask_b32_e32 v8, v14, v10, vcc
	v_cndmask_b32_e64 v9, v9, v8, s[0:1]
	v_cndmask_b32_e64 v7, v7, v9, s[2:3]
	v_alignbit_b32 v10, v11, v7, v13
	v_cndmask_b32_e64 v10, v10, v11, s[4:5]
	v_bfe_u32 v15, v5, 29, 1
	v_cndmask_b32_e64 v6, v8, v6, s[0:1]
	v_alignbit_b32 v11, v5, v10, 30
	v_sub_u32_e32 v16, 0, v15
	v_cndmask_b32_e64 v6, v9, v6, s[2:3]
	v_xor_b32_e32 v11, v11, v16
	v_alignbit_b32 v8, v7, v6, v13
	v_cndmask_b32_e64 v7, v8, v7, s[4:5]
	v_ffbh_u32_e32 v9, v11
	v_alignbit_b32 v8, v10, v7, 30
	v_min_u32_e32 v9, 32, v9
	v_alignbit_b32 v6, v7, v6, 30
	v_xor_b32_e32 v8, v8, v16
	v_sub_u32_e32 v10, 31, v9
	v_xor_b32_e32 v6, v6, v16
	v_alignbit_b32 v11, v11, v8, v10
	v_alignbit_b32 v6, v8, v6, v10
	;; [unrolled: 1-line block ×3, first 2 shown]
	v_ffbh_u32_e32 v8, v7
	v_min_u32_e32 v8, 32, v8
	v_lshrrev_b32_e32 v14, 29, v5
	v_not_b32_e32 v10, v8
	v_alignbit_b32 v6, v7, v6, v10
	v_lshlrev_b32_e32 v7, 31, v14
	v_or_b32_e32 v10, 0x33000000, v7
	v_add_lshl_u32 v8, v8, v9, 23
	v_lshrrev_b32_e32 v6, 9, v6
	v_sub_u32_e32 v8, v10, v8
	v_or_b32_e32 v7, 0.5, v7
	v_lshlrev_b32_e32 v9, 23, v9
	v_or_b32_e32 v6, v8, v6
	v_lshrrev_b32_e32 v8, 9, v11
	v_sub_u32_e32 v7, v7, v9
	v_or_b32_e32 v7, v8, v7
	s_mov_b32 s0, 0x3fc90fda
	v_mul_f32_e32 v8, 0x3fc90fda, v7
	v_fma_f32 v9, v7, s0, -v8
	v_fmamk_f32 v7, v7, 0x33a22168, v9
	v_fmac_f32_e32 v7, 0x3fc90fda, v6
	v_lshrrev_b32_e32 v5, 30, v5
	v_add_f32_e32 v6, v8, v7
	v_add_u32_e32 v5, v15, v5
	s_andn2_saveexec_b64 s[0:1], s[14:15]
	s_cbranch_execnz .LBB39_58
	s_branch .LBB39_59
.LBB39_57:
	s_andn2_saveexec_b64 s[0:1], s[14:15]
	s_cbranch_execz .LBB39_59
.LBB39_58:
	s_mov_b32 s2, 0x3f22f983
	v_mul_f32_e64 v5, |v1|, s2
	v_rndne_f32_e32 v6, v5
	s_mov_b32 s2, 0xbfc90fda
	v_cvt_i32_f32_e32 v5, v6
	v_fma_f32 v7, v6, s2, |v1|
	v_fmamk_f32 v7, v6, 0xb3a22168, v7
	v_fmamk_f32 v6, v6, 0xa7c234c4, v7
.LBB39_59:
	s_or_b64 exec, exec, s[0:1]
	v_mul_f32_e32 v8, v0, v0
	v_mov_b32_e32 v9, 0xbab64f3b
	v_fmamk_f32 v10, v8, 0x37d75334, v9
	v_mov_b32_e32 v13, 0x3c0881c4
	v_fmaak_f32 v10, v8, v10, 0x3d2aabf7
	v_fmamk_f32 v14, v8, 0xb94c1982, v13
	v_fmaak_f32 v10, v8, v10, 0xbf000004
	v_fmaak_f32 v14, v8, v14, 0xbe2aaa9d
	v_lshlrev_b32_e32 v7, 30, v3
	v_and_b32_e32 v3, 1, v3
	v_fma_f32 v10, v8, v10, 1.0
	v_mul_f32_e32 v8, v8, v14
	v_fmac_f32_e32 v0, v0, v8
	v_cmp_eq_u32_e32 vcc, 0, v3
	s_brev_b32 s1, 1
	v_add_f32_e32 v3, 0xc322e3bc, v4
	v_cndmask_b32_e64 v0, -v0, v10, vcc
	v_bitop3_b32 v0, v7, v0, s1 bitop3:0x6c
	s_mov_b32 s1, 0x3fb8aa3b
	v_mul_f32_e32 v4, 0x3fb8aa3b, v3
	v_fma_f32 v7, v3, s1, -v4
	v_rndne_f32_e32 v8, v4
	v_fmamk_f32 v7, v3, 0x32a5705f, v7
	v_sub_f32_e32 v4, v4, v8
	v_add_f32_e32 v4, v4, v7
	v_exp_f32_e32 v4, v4
	v_cvt_i32_f32_e32 v7, v8
	s_movk_i32 s0, 0x1f8
	v_cmp_class_f32_e64 vcc, v1, s0
	s_mov_b32 s0, 0xc2ce8ed0
	v_ldexp_f32 v4, v4, v7
	v_cmp_ngt_f32_e64 s[0:1], s0, v3
	v_mov_b32_e32 v7, 0x7f800000
	v_mov_b32_e32 v11, 0x3d2aabf7
	v_cndmask_b32_e64 v4, 0, v4, s[0:1]
	s_mov_b32 s0, 0x42b17218
	v_cmp_nlt_f32_e64 s[0:1], s0, v3
	v_mov_b32_e32 v15, 0xbe2aaa9d
	v_mov_b32_e32 v12, 0xbf000004
	v_cndmask_b32_e64 v3, v7, v4, s[0:1]
	v_and_b32_e32 v4, 0x7fffff, v3
	v_lshrrev_b32_e32 v3, 23, v3
	v_subrev_u32_e32 v3, 19, v3
	v_lshrrev_b16_e32 v7, 15, v3
	v_add_u16_e32 v7, v3, v7
	v_ashrrev_i16_e32 v7, 1, v7
	v_bfe_i32 v7, v7, 0, 16
	v_lshl_add_u32 v10, v7, 23, 1.0
	v_sub_u32_e32 v3, v3, v7
	v_mul_f32_e32 v7, v6, v6
	v_fmac_f32_e32 v13, 0xb94c1982, v7
	v_fmac_f32_e32 v9, 0x37d75334, v7
	;; [unrolled: 1-line block ×4, first 2 shown]
	v_mul_f32_e32 v13, v7, v15
	v_fmac_f32_e32 v12, v7, v11
	v_and_b32_e32 v9, 1, v5
	v_fmac_f32_e32 v6, v6, v13
	v_fma_f32 v7, v7, v12, 1.0
	v_cmp_eq_u32_e64 s[0:1], 0, v9
	v_lshlrev_b32_e32 v5, 30, v5
	v_and_b32_e32 v5, 0x80000000, v5
	v_cndmask_b32_e64 v6, v7, v6, s[0:1]
	v_bitop3_b32 v2, v5, v6, v2 bitop3:0x36
	v_mov_b32_e32 v8, 0x7fc00000
	v_xor_b32_e32 v1, v2, v1
	v_cndmask_b32_e32 v0, v8, v0, vcc
	v_or_b32_e32 v4, 0x7f000000, v4
	v_cndmask_b32_e32 v1, v8, v1, vcc
	v_mul_f32_e32 v0, v0, v4
	v_mul_f32_e32 v1, v1, v4
	;; [unrolled: 1-line block ×3, first 2 shown]
	v_lshl_add_u32 v3, v3, 23, 1.0
	v_mul_f32_e32 v1, v1, v10
	v_mul_f32_e32 v0, v0, v3
	;; [unrolled: 1-line block ×3, first 2 shown]
	s_or_b64 exec, exec, s[12:13]
                                        ; implicit-def: $vgpr4
                                        ; implicit-def: $vgpr3
.LBB39_60:
	s_andn2_saveexec_b64 s[0:1], s[10:11]
	s_cbranch_execz .LBB39_66
.LBB39_61:
	s_mov_b32 s2, 0x7f800000
	v_cmp_ne_u32_e32 vcc, s2, v3
	v_sub_f32_e32 v1, v1, v1
	s_and_saveexec_b64 s[2:3], vcc
	s_xor_b64 s[2:3], exec, s[2:3]
; %bb.62:
                                        ; implicit-def: $vgpr4
; %bb.63:
	s_or_saveexec_b64 s[2:3], s[2:3]
	v_mov_b32_e32 v0, v1
	s_xor_b64 exec, exec, s[2:3]
; %bb.64:
	v_cmp_lt_i32_e32 vcc, -1, v4
	s_nop 1
	v_cndmask_b32_e32 v0, 0, v4, vcc
	v_cndmask_b32_e32 v1, 0, v1, vcc
; %bb.65:
	s_or_b64 exec, exec, s[2:3]
.LBB39_66:
	s_or_b64 exec, exec, s[0:1]
                                        ; implicit-def: $vgpr2
.LBB39_67:
	s_andn2_saveexec_b64 s[8:9], s[8:9]
	s_cbranch_execz .LBB39_77
; %bb.68:
	s_brev_b32 s0, 18
	v_cmp_nlt_f32_e64 s[10:11], |v1|, s0
	v_lshrrev_b32_e32 v4, 23, v2
                                        ; implicit-def: $vgpr0
                                        ; implicit-def: $vgpr3
	s_and_saveexec_b64 s[0:1], s[10:11]
	s_xor_b64 s[12:13], exec, s[0:1]
	s_cbranch_execz .LBB39_70
; %bb.69:
	v_add_u32_e32 v0, 0xffffff88, v4
	v_not_b32_e32 v3, 63
	v_cmp_lt_u32_e32 vcc, 63, v0
	s_mov_b32 s4, 0xfe5163ab
	v_mov_b32_e32 v9, 0
	v_cndmask_b32_e32 v3, 0, v3, vcc
	v_add_u32_e32 v0, v3, v0
	v_not_b32_e32 v3, 31
	v_cmp_lt_u32_e64 s[0:1], 31, v0
	s_nop 1
	v_cndmask_b32_e64 v5, 0, v3, s[0:1]
	v_add_u32_e32 v0, v5, v0
	v_cmp_lt_u32_e64 s[2:3], 31, v0
	s_nop 1
	v_cndmask_b32_e64 v3, 0, v3, s[2:3]
	v_add_u32_e32 v0, v3, v0
	v_and_b32_e32 v3, 0x7fffff, v2
	v_or_b32_e32 v3, 0x800000, v3
	v_mad_u64_u32 v[6:7], s[4:5], v3, s4, 0
	v_mov_b32_e32 v8, v7
	s_mov_b32 s4, 0x3c439041
	v_mad_u64_u32 v[10:11], s[4:5], v3, s4, v[8:9]
	v_mov_b32_e32 v8, v11
	s_mov_b32 s4, 0xdb629599
	;; [unrolled: 3-line block ×6, first 2 shown]
	v_mad_u64_u32 v[8:9], s[4:5], v3, s4, v[8:9]
	v_cndmask_b32_e32 v5, v18, v14, vcc
	v_cndmask_b32_e32 v3, v8, v16, vcc
	;; [unrolled: 1-line block ×3, first 2 shown]
	v_cndmask_b32_e64 v7, v3, v5, s[0:1]
	v_cndmask_b32_e64 v3, v8, v3, s[0:1]
	v_cndmask_b32_e32 v8, v16, v12, vcc
	v_cndmask_b32_e64 v5, v5, v8, s[0:1]
	v_cndmask_b32_e64 v3, v3, v7, s[2:3]
	;; [unrolled: 1-line block ×3, first 2 shown]
	v_sub_u32_e32 v9, 32, v0
	v_alignbit_b32 v11, v3, v7, v9
	v_cmp_eq_u32_e64 s[4:5], 0, v0
	v_cndmask_b32_e32 v6, v12, v6, vcc
	s_nop 0
	v_cndmask_b32_e64 v0, v11, v3, s[4:5]
	v_cndmask_b32_e32 v3, v14, v10, vcc
	v_cndmask_b32_e64 v8, v8, v3, s[0:1]
	v_cndmask_b32_e64 v5, v5, v8, s[2:3]
	v_alignbit_b32 v10, v7, v5, v9
	v_cndmask_b32_e64 v3, v3, v6, s[0:1]
	v_cndmask_b32_e64 v7, v10, v7, s[4:5]
	v_bfe_u32 v13, v0, 29, 1
	v_cndmask_b32_e64 v3, v8, v3, s[2:3]
	v_alignbit_b32 v10, v0, v7, 30
	v_sub_u32_e32 v14, 0, v13
	v_alignbit_b32 v6, v5, v3, v9
	v_xor_b32_e32 v10, v10, v14
	v_cndmask_b32_e64 v5, v6, v5, s[4:5]
	v_alignbit_b32 v6, v7, v5, 30
	v_ffbh_u32_e32 v7, v10
	v_min_u32_e32 v7, 32, v7
	v_alignbit_b32 v3, v5, v3, 30
	v_xor_b32_e32 v6, v6, v14
	v_sub_u32_e32 v8, 31, v7
	v_xor_b32_e32 v3, v3, v14
	v_alignbit_b32 v9, v10, v6, v8
	v_alignbit_b32 v3, v6, v3, v8
	;; [unrolled: 1-line block ×3, first 2 shown]
	v_ffbh_u32_e32 v6, v5
	v_min_u32_e32 v6, 32, v6
	v_lshrrev_b32_e32 v11, 29, v0
	v_not_b32_e32 v8, v6
	v_alignbit_b32 v3, v5, v3, v8
	v_lshlrev_b32_e32 v5, 31, v11
	v_or_b32_e32 v8, 0x33000000, v5
	v_add_lshl_u32 v6, v6, v7, 23
	v_lshrrev_b32_e32 v3, 9, v3
	v_sub_u32_e32 v6, v8, v6
	v_or_b32_e32 v5, 0.5, v5
	v_lshlrev_b32_e32 v7, 23, v7
	v_or_b32_e32 v3, v6, v3
	v_lshrrev_b32_e32 v6, 9, v9
	v_sub_u32_e32 v5, v5, v7
	v_or_b32_e32 v5, v6, v5
	s_mov_b32 s0, 0x3fc90fda
	v_mul_f32_e32 v6, 0x3fc90fda, v5
	v_fma_f32 v7, v5, s0, -v6
	v_fmamk_f32 v5, v5, 0x33a22168, v7
	v_fmac_f32_e32 v5, 0x3fc90fda, v3
	v_lshrrev_b32_e32 v0, 30, v0
	v_add_f32_e32 v3, v6, v5
	v_add_u32_e32 v0, v13, v0
	s_andn2_saveexec_b64 s[0:1], s[12:13]
	s_cbranch_execz .LBB39_72
	s_branch .LBB39_71
.LBB39_70:
	s_andn2_saveexec_b64 s[0:1], s[12:13]
	s_cbranch_execz .LBB39_72
.LBB39_71:
	s_mov_b32 s2, 0x3f22f983
	v_mul_f32_e64 v0, |v1|, s2
	v_rndne_f32_e32 v3, v0
	s_mov_b32 s2, 0xbfc90fda
	v_cvt_i32_f32_e32 v0, v3
	v_fma_f32 v5, v3, s2, |v1|
	v_fmamk_f32 v5, v3, 0xb3a22168, v5
	v_fmamk_f32 v3, v3, 0xa7c234c4, v5
.LBB39_72:
	s_or_b64 exec, exec, s[0:1]
                                        ; implicit-def: $vgpr5
                                        ; implicit-def: $vgpr6
	s_and_saveexec_b64 s[0:1], s[10:11]
	s_xor_b64 s[10:11], exec, s[0:1]
	s_cbranch_execz .LBB39_74
; %bb.73:
	v_add_u32_e32 v4, 0xffffff88, v4
	v_not_b32_e32 v5, 63
	v_cmp_lt_u32_e32 vcc, 63, v4
	s_mov_b32 s4, 0xfe5163ab
	v_mov_b32_e32 v7, 0
	v_cndmask_b32_e32 v5, 0, v5, vcc
	v_add_u32_e32 v4, v5, v4
	v_not_b32_e32 v5, 31
	v_cmp_lt_u32_e64 s[0:1], 31, v4
	s_nop 1
	v_cndmask_b32_e64 v6, 0, v5, s[0:1]
	v_add_u32_e32 v4, v6, v4
	v_cmp_lt_u32_e64 s[2:3], 31, v4
	s_nop 1
	v_cndmask_b32_e64 v5, 0, v5, s[2:3]
	v_add_u32_e32 v18, v5, v4
	v_and_b32_e32 v4, 0x7fffff, v2
	v_or_b32_e32 v19, 0x800000, v4
	v_mad_u64_u32 v[4:5], s[4:5], v19, s4, 0
	v_mov_b32_e32 v6, v5
	s_mov_b32 s4, 0x3c439041
	v_mad_u64_u32 v[8:9], s[4:5], v19, s4, v[6:7]
	v_mov_b32_e32 v6, v9
	s_mov_b32 s4, 0xdb629599
	;; [unrolled: 3-line block ×6, first 2 shown]
	v_mad_u64_u32 v[6:7], s[4:5], v19, s4, v[6:7]
	v_cndmask_b32_e32 v5, v16, v12, vcc
	v_cndmask_b32_e32 v6, v6, v14, vcc
	;; [unrolled: 1-line block ×3, first 2 shown]
	v_cndmask_b32_e64 v9, v6, v5, s[0:1]
	v_cndmask_b32_e64 v6, v7, v6, s[0:1]
	v_cndmask_b32_e32 v7, v14, v10, vcc
	v_cndmask_b32_e64 v5, v5, v7, s[0:1]
	v_cndmask_b32_e64 v6, v6, v9, s[2:3]
	;; [unrolled: 1-line block ×3, first 2 shown]
	v_sub_u32_e32 v11, 32, v18
	v_alignbit_b32 v13, v6, v9, v11
	v_cmp_eq_u32_e64 s[4:5], 0, v18
	v_cndmask_b32_e32 v4, v10, v4, vcc
	s_nop 0
	v_cndmask_b32_e64 v13, v13, v6, s[4:5]
	v_cndmask_b32_e32 v6, v12, v8, vcc
	v_cndmask_b32_e64 v7, v7, v6, s[0:1]
	v_cndmask_b32_e64 v5, v5, v7, s[2:3]
	v_alignbit_b32 v8, v9, v5, v11
	v_cndmask_b32_e64 v8, v8, v9, s[4:5]
	v_bfe_u32 v14, v13, 29, 1
	v_cndmask_b32_e64 v4, v6, v4, s[0:1]
	v_alignbit_b32 v9, v13, v8, 30
	v_sub_u32_e32 v15, 0, v14
	v_cndmask_b32_e64 v4, v7, v4, s[2:3]
	v_xor_b32_e32 v9, v9, v15
	v_alignbit_b32 v6, v5, v4, v11
	v_cndmask_b32_e64 v5, v6, v5, s[4:5]
	v_ffbh_u32_e32 v7, v9
	v_alignbit_b32 v6, v8, v5, 30
	v_min_u32_e32 v7, 32, v7
	v_alignbit_b32 v4, v5, v4, 30
	v_xor_b32_e32 v6, v6, v15
	v_sub_u32_e32 v8, 31, v7
	v_xor_b32_e32 v4, v4, v15
	v_alignbit_b32 v9, v9, v6, v8
	v_alignbit_b32 v4, v6, v4, v8
	;; [unrolled: 1-line block ×3, first 2 shown]
	v_ffbh_u32_e32 v6, v5
	v_min_u32_e32 v6, 32, v6
	v_lshrrev_b32_e32 v12, 29, v13
	v_not_b32_e32 v8, v6
	v_alignbit_b32 v4, v5, v4, v8
	v_lshlrev_b32_e32 v5, 31, v12
	v_or_b32_e32 v8, 0x33000000, v5
	v_add_lshl_u32 v6, v6, v7, 23
	v_lshrrev_b32_e32 v4, 9, v4
	v_sub_u32_e32 v6, v8, v6
	v_or_b32_e32 v5, 0.5, v5
	v_lshlrev_b32_e32 v7, 23, v7
	v_or_b32_e32 v4, v6, v4
	v_lshrrev_b32_e32 v6, 9, v9
	v_sub_u32_e32 v5, v5, v7
	v_or_b32_e32 v5, v6, v5
	s_mov_b32 s0, 0x3fc90fda
	v_mul_f32_e32 v6, 0x3fc90fda, v5
	v_fma_f32 v7, v5, s0, -v6
	v_fmamk_f32 v5, v5, 0x33a22168, v7
	v_fmac_f32_e32 v5, 0x3fc90fda, v4
	v_lshrrev_b32_e32 v4, 30, v13
	v_add_f32_e32 v6, v6, v5
	v_add_u32_e32 v5, v14, v4
	s_andn2_saveexec_b64 s[0:1], s[10:11]
	s_cbranch_execnz .LBB39_75
	s_branch .LBB39_76
.LBB39_74:
	s_andn2_saveexec_b64 s[0:1], s[10:11]
	s_cbranch_execz .LBB39_76
.LBB39_75:
	s_mov_b32 s2, 0x3f22f983
	v_mul_f32_e64 v4, |v1|, s2
	v_rndne_f32_e32 v4, v4
	s_mov_b32 s2, 0xbfc90fda
	v_cvt_i32_f32_e32 v5, v4
	v_fma_f32 v6, v4, s2, |v1|
	v_fmamk_f32 v6, v4, 0xb3a22168, v6
	v_fmamk_f32 v6, v4, 0xa7c234c4, v6
.LBB39_76:
	s_or_b64 exec, exec, s[0:1]
	v_mul_f32_e32 v4, v3, v3
	v_mov_b32_e32 v7, 0x3c0881c4
	v_fmamk_f32 v8, v4, 0xb94c1982, v7
	v_fmaak_f32 v8, v4, v8, 0xbe2aaa9d
	v_mul_f32_e32 v8, v4, v8
	v_fmac_f32_e32 v3, v3, v8
	v_mov_b32_e32 v8, 0xbab64f3b
	v_fmamk_f32 v10, v4, 0x37d75334, v8
	v_fmaak_f32 v10, v4, v10, 0x3d2aabf7
	v_fmaak_f32 v10, v4, v10, 0xbf000004
	v_fma_f32 v4, v4, v10, 1.0
	v_and_b32_e32 v10, 1, v0
	v_cmp_eq_u32_e32 vcc, 0, v10
	v_mov_b32_e32 v9, 0xbe2aaa9d
	v_mov_b32_e32 v11, 0x3d2aabf7
	v_cndmask_b32_e64 v3, -v3, v4, vcc
	v_mul_f32_e32 v4, v6, v6
	v_fmac_f32_e32 v7, 0xb94c1982, v4
	v_fmac_f32_e32 v9, v4, v7
	;; [unrolled: 1-line block ×3, first 2 shown]
	v_mov_b32_e32 v12, 0xbf000004
	v_lshlrev_b32_e32 v0, 30, v0
	s_brev_b32 s0, 1
	v_mul_f32_e32 v7, v4, v9
	v_fmac_f32_e32 v11, v4, v8
	v_bitop3_b32 v0, v0, v3, s0 bitop3:0x6c
	s_movk_i32 s0, 0x1f8
	v_fmac_f32_e32 v6, v6, v7
	v_fmac_f32_e32 v12, v4, v11
	v_and_b32_e32 v7, 1, v5
	v_cmp_class_f32_e64 vcc, v1, s0
	v_fma_f32 v4, v4, v12, 1.0
	v_cmp_eq_u32_e64 s[0:1], 0, v7
	v_lshlrev_b32_e32 v5, 30, v5
	v_and_b32_e32 v5, 0x80000000, v5
	v_cndmask_b32_e64 v4, v4, v6, s[0:1]
	v_bitop3_b32 v2, v5, v4, v2 bitop3:0x36
	v_mov_b32_e32 v3, 0x7fc00000
	v_xor_b32_e32 v1, v2, v1
	v_cndmask_b32_e32 v0, v3, v0, vcc
	v_cndmask_b32_e32 v1, v3, v1, vcc
.LBB39_77:
	s_or_b64 exec, exec, s[8:9]
                                        ; implicit-def: $vgpr4
	s_andn2_saveexec_b64 s[0:1], s[6:7]
	s_cbranch_execnz .LBB39_41
.LBB39_78:
	s_or_b64 exec, exec, s[0:1]
	s_setpc_b64 s[30:31]
.Lfunc_end39:
	.size	_ZN16c10_complex_math3powIfEEN3c107complexIT_EERKS4_S6_, .Lfunc_end39-_ZN16c10_complex_math3powIfEEN3c107complexIT_EERKS4_S6_
                                        ; -- End function
	.set .L_ZN16c10_complex_math3powIfEEN3c107complexIT_EERKS4_S6_.num_vgpr, 21
	.set .L_ZN16c10_complex_math3powIfEEN3c107complexIT_EERKS4_S6_.num_agpr, 0
	.set .L_ZN16c10_complex_math3powIfEEN3c107complexIT_EERKS4_S6_.numbered_sgpr, 32
	.set .L_ZN16c10_complex_math3powIfEEN3c107complexIT_EERKS4_S6_.num_named_barrier, 0
	.set .L_ZN16c10_complex_math3powIfEEN3c107complexIT_EERKS4_S6_.private_seg_size, 0
	.set .L_ZN16c10_complex_math3powIfEEN3c107complexIT_EERKS4_S6_.uses_vcc, 1
	.set .L_ZN16c10_complex_math3powIfEEN3c107complexIT_EERKS4_S6_.uses_flat_scratch, 0
	.set .L_ZN16c10_complex_math3powIfEEN3c107complexIT_EERKS4_S6_.has_dyn_sized_stack, 0
	.set .L_ZN16c10_complex_math3powIfEEN3c107complexIT_EERKS4_S6_.has_recursion, 0
	.set .L_ZN16c10_complex_math3powIfEEN3c107complexIT_EERKS4_S6_.has_indirect_call, 0
	.section	.AMDGPU.csdata,"",@progbits
; Function info:
; codeLenInByte = 11204
; TotalNumSgprs: 38
; NumVgprs: 21
; NumAgprs: 0
; TotalNumVgprs: 21
; ScratchSize: 0
; MemoryBound: 0
	.section	.text._ZN12_GLOBAL__N_141elementwise_kernel_with_index_grid_strideIiZZZN2at6native17logspace_cuda_outERKN3c106ScalarES6_ldRNS1_6TensorEENKUlvE0_clEvENKUlvE2_clEvEUllE_EEvT_T0_PN15function_traitsISD_E11result_typeE,"axG",@progbits,_ZN12_GLOBAL__N_141elementwise_kernel_with_index_grid_strideIiZZZN2at6native17logspace_cuda_outERKN3c106ScalarES6_ldRNS1_6TensorEENKUlvE0_clEvENKUlvE2_clEvEUllE_EEvT_T0_PN15function_traitsISD_E11result_typeE,comdat
	.globl	_ZN12_GLOBAL__N_141elementwise_kernel_with_index_grid_strideIiZZZN2at6native17logspace_cuda_outERKN3c106ScalarES6_ldRNS1_6TensorEENKUlvE0_clEvENKUlvE2_clEvEUllE_EEvT_T0_PN15function_traitsISD_E11result_typeE ; -- Begin function _ZN12_GLOBAL__N_141elementwise_kernel_with_index_grid_strideIiZZZN2at6native17logspace_cuda_outERKN3c106ScalarES6_ldRNS1_6TensorEENKUlvE0_clEvENKUlvE2_clEvEUllE_EEvT_T0_PN15function_traitsISD_E11result_typeE
	.p2align	8
	.type	_ZN12_GLOBAL__N_141elementwise_kernel_with_index_grid_strideIiZZZN2at6native17logspace_cuda_outERKN3c106ScalarES6_ldRNS1_6TensorEENKUlvE0_clEvENKUlvE2_clEvEUllE_EEvT_T0_PN15function_traitsISD_E11result_typeE,@function
_ZN12_GLOBAL__N_141elementwise_kernel_with_index_grid_strideIiZZZN2at6native17logspace_cuda_outERKN3c106ScalarES6_ldRNS1_6TensorEENKUlvE0_clEvENKUlvE2_clEvEUllE_EEvT_T0_PN15function_traitsISD_E11result_typeE: ; @_ZN12_GLOBAL__N_141elementwise_kernel_with_index_grid_strideIiZZZN2at6native17logspace_cuda_outERKN3c106ScalarES6_ldRNS1_6TensorEENKUlvE0_clEvENKUlvE2_clEvEUllE_EEvT_T0_PN15function_traitsISD_E11result_typeE
; %bb.0:
	s_load_dword s3, s[0:1], 0x4c
	s_load_dword s33, s[0:1], 0x0
	s_add_u32 s4, s0, 64
	s_addc_u32 s5, s1, 0
	s_mov_b32 s32, 0
	s_waitcnt lgkmcnt(0)
	s_and_b32 s3, s3, 0xffff
	s_mul_i32 s2, s2, s3
	v_add_u32_e32 v22, s2, v0
	v_cmp_gt_i32_e32 vcc, s33, v22
	s_and_saveexec_b64 s[6:7], vcc
	s_cbranch_execz .LBB40_7
; %bb.1:
	s_load_dwordx4 s[36:39], s[0:1], 0x30
	s_load_dword s2, s[4:5], 0x0
	s_load_dwordx2 s[22:23], s[0:1], 0x28
	s_load_dwordx8 s[24:31], s[0:1], 0x8
	v_ashrrev_i32_e32 v23, 31, v22
	s_waitcnt lgkmcnt(0)
	v_mov_b32_e32 v0, s38
	v_mov_b32_e32 v1, s39
	s_mul_i32 s34, s2, s3
	v_not_b32_e32 v3, v23
	v_not_b32_e32 v2, v22
	s_ashr_i32 s35, s34, 31
	v_lshl_add_u64 v[0:1], v[22:23], 3, v[0:1]
	v_lshl_add_u64 v[24:25], v[2:3], 0, s[30:31]
	;; [unrolled: 1-line block ×3, first 2 shown]
	s_lshl_b64 s[38:39], s[34:35], 3
	s_mov_b64 s[40:41], 0
	v_mov_b32_e32 v21, s35
	s_branch .LBB40_3
.LBB40_2:                               ;   in Loop: Header=BB40_3 Depth=1
	s_or_b64 exec, exec, s[42:43]
	v_subrev_co_u32_e32 v24, vcc, s34, v24
	v_lshl_add_u64 v[22:23], v[22:23], 0, s[34:35]
	s_nop 0
	v_subb_co_u32_e32 v25, vcc, v25, v21, vcc
	v_cmp_le_i32_e32 vcc, s33, v22
	global_store_dwordx2 v[26:27], v[0:1], off offset:-4
	s_or_b64 s[40:41], vcc, s[40:41]
	v_lshl_add_u64 v[26:27], v[26:27], 0, s[38:39]
	s_andn2_b64 exec, exec, s[40:41]
	s_cbranch_execz .LBB40_7
.LBB40_3:                               ; =>This Inner Loop Header: Depth=1
	v_cmp_le_i64_e32 vcc, s[36:37], v[22:23]
                                        ; implicit-def: $vgpr0
	s_and_saveexec_b64 s[0:1], vcc
	s_xor_b64 s[42:43], exec, s[0:1]
	s_cbranch_execz .LBB40_5
; %bb.4:                                ;   in Loop: Header=BB40_3 Depth=1
	v_xor_b32_e32 v1, v24, v25
	v_ffbh_i32_e32 v0, v25
	v_ashrrev_i32_e32 v1, 31, v1
	v_add_u32_e32 v0, -1, v0
	v_add_u32_e32 v1, 32, v1
	v_min_u32_e32 v2, v0, v1
	v_lshlrev_b64 v[0:1], v2, v[24:25]
	v_min_u32_e32 v0, 1, v0
	v_or_b32_e32 v0, v1, v0
	v_cvt_f32_i32_e32 v0, v0
	v_sub_u32_e32 v1, 32, v2
	s_getpc_b64 s[0:1]
	s_add_u32 s0, s0, _ZN16c10_complex_math3powIfEEN3c107complexIT_EERKS4_S6_@rel32@lo+4
	s_addc_u32 s1, s1, _ZN16c10_complex_math3powIfEEN3c107complexIT_EERKS4_S6_@rel32@hi+12
	v_ldexp_f32 v0, v0, v1
	v_mov_b32_e32 v1, s26
	v_fma_f32 v2, -s22, v0, v1
	v_mov_b32_e32 v1, s27
	v_fma_f32 v3, -s23, v0, v1
	v_mov_b32_e32 v0, s28
	v_mov_b32_e32 v1, s29
	s_swappc_b64 s[30:31], s[0:1]
.LBB40_5:                               ;   in Loop: Header=BB40_3 Depth=1
	s_andn2_saveexec_b64 s[42:43], s[42:43]
	s_cbranch_execz .LBB40_2
; %bb.6:                                ;   in Loop: Header=BB40_3 Depth=1
	v_cvt_f32_i32_e32 v0, v22
	v_mov_b32_e32 v1, s24
	v_mov_b32_e32 v3, s25
	s_getpc_b64 s[0:1]
	s_add_u32 s0, s0, _ZN16c10_complex_math3powIfEEN3c107complexIT_EERKS4_S6_@rel32@lo+4
	s_addc_u32 s1, s1, _ZN16c10_complex_math3powIfEEN3c107complexIT_EERKS4_S6_@rel32@hi+12
	v_fma_f32 v2, s22, v0, v1
	v_fma_f32 v3, s23, v0, v3
	v_mov_b32_e32 v0, s28
	v_mov_b32_e32 v1, s29
	s_swappc_b64 s[30:31], s[0:1]
	s_branch .LBB40_2
.LBB40_7:
	s_endpgm
	.section	.rodata,"a",@progbits
	.p2align	6, 0x0
	.amdhsa_kernel _ZN12_GLOBAL__N_141elementwise_kernel_with_index_grid_strideIiZZZN2at6native17logspace_cuda_outERKN3c106ScalarES6_ldRNS1_6TensorEENKUlvE0_clEvENKUlvE2_clEvEUllE_EEvT_T0_PN15function_traitsISD_E11result_typeE
		.amdhsa_group_segment_fixed_size 0
		.amdhsa_private_segment_fixed_size 0
		.amdhsa_kernarg_size 320
		.amdhsa_user_sgpr_count 2
		.amdhsa_user_sgpr_dispatch_ptr 0
		.amdhsa_user_sgpr_queue_ptr 0
		.amdhsa_user_sgpr_kernarg_segment_ptr 1
		.amdhsa_user_sgpr_dispatch_id 0
		.amdhsa_user_sgpr_kernarg_preload_length 0
		.amdhsa_user_sgpr_kernarg_preload_offset 0
		.amdhsa_user_sgpr_private_segment_size 0
		.amdhsa_uses_dynamic_stack 0
		.amdhsa_enable_private_segment 0
		.amdhsa_system_sgpr_workgroup_id_x 1
		.amdhsa_system_sgpr_workgroup_id_y 0
		.amdhsa_system_sgpr_workgroup_id_z 0
		.amdhsa_system_sgpr_workgroup_info 0
		.amdhsa_system_vgpr_workitem_id 0
		.amdhsa_next_free_vgpr 28
		.amdhsa_next_free_sgpr 44
		.amdhsa_accum_offset 28
		.amdhsa_reserve_vcc 1
		.amdhsa_float_round_mode_32 0
		.amdhsa_float_round_mode_16_64 0
		.amdhsa_float_denorm_mode_32 3
		.amdhsa_float_denorm_mode_16_64 3
		.amdhsa_dx10_clamp 1
		.amdhsa_ieee_mode 1
		.amdhsa_fp16_overflow 0
		.amdhsa_tg_split 0
		.amdhsa_exception_fp_ieee_invalid_op 0
		.amdhsa_exception_fp_denorm_src 0
		.amdhsa_exception_fp_ieee_div_zero 0
		.amdhsa_exception_fp_ieee_overflow 0
		.amdhsa_exception_fp_ieee_underflow 0
		.amdhsa_exception_fp_ieee_inexact 0
		.amdhsa_exception_int_div_zero 0
	.end_amdhsa_kernel
	.section	.text._ZN12_GLOBAL__N_141elementwise_kernel_with_index_grid_strideIiZZZN2at6native17logspace_cuda_outERKN3c106ScalarES6_ldRNS1_6TensorEENKUlvE0_clEvENKUlvE2_clEvEUllE_EEvT_T0_PN15function_traitsISD_E11result_typeE,"axG",@progbits,_ZN12_GLOBAL__N_141elementwise_kernel_with_index_grid_strideIiZZZN2at6native17logspace_cuda_outERKN3c106ScalarES6_ldRNS1_6TensorEENKUlvE0_clEvENKUlvE2_clEvEUllE_EEvT_T0_PN15function_traitsISD_E11result_typeE,comdat
.Lfunc_end40:
	.size	_ZN12_GLOBAL__N_141elementwise_kernel_with_index_grid_strideIiZZZN2at6native17logspace_cuda_outERKN3c106ScalarES6_ldRNS1_6TensorEENKUlvE0_clEvENKUlvE2_clEvEUllE_EEvT_T0_PN15function_traitsISD_E11result_typeE, .Lfunc_end40-_ZN12_GLOBAL__N_141elementwise_kernel_with_index_grid_strideIiZZZN2at6native17logspace_cuda_outERKN3c106ScalarES6_ldRNS1_6TensorEENKUlvE0_clEvENKUlvE2_clEvEUllE_EEvT_T0_PN15function_traitsISD_E11result_typeE
                                        ; -- End function
	.set _ZN12_GLOBAL__N_141elementwise_kernel_with_index_grid_strideIiZZZN2at6native17logspace_cuda_outERKN3c106ScalarES6_ldRNS1_6TensorEENKUlvE0_clEvENKUlvE2_clEvEUllE_EEvT_T0_PN15function_traitsISD_E11result_typeE.num_vgpr, max(28, .L_ZN16c10_complex_math3powIfEEN3c107complexIT_EERKS4_S6_.num_vgpr)
	.set _ZN12_GLOBAL__N_141elementwise_kernel_with_index_grid_strideIiZZZN2at6native17logspace_cuda_outERKN3c106ScalarES6_ldRNS1_6TensorEENKUlvE0_clEvENKUlvE2_clEvEUllE_EEvT_T0_PN15function_traitsISD_E11result_typeE.num_agpr, max(0, .L_ZN16c10_complex_math3powIfEEN3c107complexIT_EERKS4_S6_.num_agpr)
	.set _ZN12_GLOBAL__N_141elementwise_kernel_with_index_grid_strideIiZZZN2at6native17logspace_cuda_outERKN3c106ScalarES6_ldRNS1_6TensorEENKUlvE0_clEvENKUlvE2_clEvEUllE_EEvT_T0_PN15function_traitsISD_E11result_typeE.numbered_sgpr, max(44, .L_ZN16c10_complex_math3powIfEEN3c107complexIT_EERKS4_S6_.numbered_sgpr)
	.set _ZN12_GLOBAL__N_141elementwise_kernel_with_index_grid_strideIiZZZN2at6native17logspace_cuda_outERKN3c106ScalarES6_ldRNS1_6TensorEENKUlvE0_clEvENKUlvE2_clEvEUllE_EEvT_T0_PN15function_traitsISD_E11result_typeE.num_named_barrier, max(0, .L_ZN16c10_complex_math3powIfEEN3c107complexIT_EERKS4_S6_.num_named_barrier)
	.set _ZN12_GLOBAL__N_141elementwise_kernel_with_index_grid_strideIiZZZN2at6native17logspace_cuda_outERKN3c106ScalarES6_ldRNS1_6TensorEENKUlvE0_clEvENKUlvE2_clEvEUllE_EEvT_T0_PN15function_traitsISD_E11result_typeE.private_seg_size, 0+max(.L_ZN16c10_complex_math3powIfEEN3c107complexIT_EERKS4_S6_.private_seg_size)
	.set _ZN12_GLOBAL__N_141elementwise_kernel_with_index_grid_strideIiZZZN2at6native17logspace_cuda_outERKN3c106ScalarES6_ldRNS1_6TensorEENKUlvE0_clEvENKUlvE2_clEvEUllE_EEvT_T0_PN15function_traitsISD_E11result_typeE.uses_vcc, or(1, .L_ZN16c10_complex_math3powIfEEN3c107complexIT_EERKS4_S6_.uses_vcc)
	.set _ZN12_GLOBAL__N_141elementwise_kernel_with_index_grid_strideIiZZZN2at6native17logspace_cuda_outERKN3c106ScalarES6_ldRNS1_6TensorEENKUlvE0_clEvENKUlvE2_clEvEUllE_EEvT_T0_PN15function_traitsISD_E11result_typeE.uses_flat_scratch, or(0, .L_ZN16c10_complex_math3powIfEEN3c107complexIT_EERKS4_S6_.uses_flat_scratch)
	.set _ZN12_GLOBAL__N_141elementwise_kernel_with_index_grid_strideIiZZZN2at6native17logspace_cuda_outERKN3c106ScalarES6_ldRNS1_6TensorEENKUlvE0_clEvENKUlvE2_clEvEUllE_EEvT_T0_PN15function_traitsISD_E11result_typeE.has_dyn_sized_stack, or(0, .L_ZN16c10_complex_math3powIfEEN3c107complexIT_EERKS4_S6_.has_dyn_sized_stack)
	.set _ZN12_GLOBAL__N_141elementwise_kernel_with_index_grid_strideIiZZZN2at6native17logspace_cuda_outERKN3c106ScalarES6_ldRNS1_6TensorEENKUlvE0_clEvENKUlvE2_clEvEUllE_EEvT_T0_PN15function_traitsISD_E11result_typeE.has_recursion, or(0, .L_ZN16c10_complex_math3powIfEEN3c107complexIT_EERKS4_S6_.has_recursion)
	.set _ZN12_GLOBAL__N_141elementwise_kernel_with_index_grid_strideIiZZZN2at6native17logspace_cuda_outERKN3c106ScalarES6_ldRNS1_6TensorEENKUlvE0_clEvENKUlvE2_clEvEUllE_EEvT_T0_PN15function_traitsISD_E11result_typeE.has_indirect_call, or(0, .L_ZN16c10_complex_math3powIfEEN3c107complexIT_EERKS4_S6_.has_indirect_call)
	.section	.AMDGPU.csdata,"",@progbits
; Kernel info:
; codeLenInByte = 424
; TotalNumSgprs: 50
; NumVgprs: 28
; NumAgprs: 0
; TotalNumVgprs: 28
; ScratchSize: 0
; MemoryBound: 0
; FloatMode: 240
; IeeeMode: 1
; LDSByteSize: 0 bytes/workgroup (compile time only)
; SGPRBlocks: 6
; VGPRBlocks: 3
; NumSGPRsForWavesPerEU: 50
; NumVGPRsForWavesPerEU: 28
; AccumOffset: 28
; Occupancy: 8
; WaveLimiterHint : 0
; COMPUTE_PGM_RSRC2:SCRATCH_EN: 0
; COMPUTE_PGM_RSRC2:USER_SGPR: 2
; COMPUTE_PGM_RSRC2:TRAP_HANDLER: 0
; COMPUTE_PGM_RSRC2:TGID_X_EN: 1
; COMPUTE_PGM_RSRC2:TGID_Y_EN: 0
; COMPUTE_PGM_RSRC2:TGID_Z_EN: 0
; COMPUTE_PGM_RSRC2:TIDIG_COMP_CNT: 0
; COMPUTE_PGM_RSRC3_GFX90A:ACCUM_OFFSET: 6
; COMPUTE_PGM_RSRC3_GFX90A:TG_SPLIT: 0
	.section	.text._ZN12_GLOBAL__N_141elementwise_kernel_with_index_grid_strideIlZZZN2at6native17logspace_cuda_outERKN3c106ScalarES6_ldRNS1_6TensorEENKUlvE0_clEvENKUlvE2_clEvEUllE_EEvT_T0_PN15function_traitsISD_E11result_typeE,"axG",@progbits,_ZN12_GLOBAL__N_141elementwise_kernel_with_index_grid_strideIlZZZN2at6native17logspace_cuda_outERKN3c106ScalarES6_ldRNS1_6TensorEENKUlvE0_clEvENKUlvE2_clEvEUllE_EEvT_T0_PN15function_traitsISD_E11result_typeE,comdat
	.globl	_ZN12_GLOBAL__N_141elementwise_kernel_with_index_grid_strideIlZZZN2at6native17logspace_cuda_outERKN3c106ScalarES6_ldRNS1_6TensorEENKUlvE0_clEvENKUlvE2_clEvEUllE_EEvT_T0_PN15function_traitsISD_E11result_typeE ; -- Begin function _ZN12_GLOBAL__N_141elementwise_kernel_with_index_grid_strideIlZZZN2at6native17logspace_cuda_outERKN3c106ScalarES6_ldRNS1_6TensorEENKUlvE0_clEvENKUlvE2_clEvEUllE_EEvT_T0_PN15function_traitsISD_E11result_typeE
	.p2align	8
	.type	_ZN12_GLOBAL__N_141elementwise_kernel_with_index_grid_strideIlZZZN2at6native17logspace_cuda_outERKN3c106ScalarES6_ldRNS1_6TensorEENKUlvE0_clEvENKUlvE2_clEvEUllE_EEvT_T0_PN15function_traitsISD_E11result_typeE,@function
_ZN12_GLOBAL__N_141elementwise_kernel_with_index_grid_strideIlZZZN2at6native17logspace_cuda_outERKN3c106ScalarES6_ldRNS1_6TensorEENKUlvE0_clEvENKUlvE2_clEvEUllE_EEvT_T0_PN15function_traitsISD_E11result_typeE: ; @_ZN12_GLOBAL__N_141elementwise_kernel_with_index_grid_strideIlZZZN2at6native17logspace_cuda_outERKN3c106ScalarES6_ldRNS1_6TensorEENKUlvE0_clEvENKUlvE2_clEvEUllE_EEvT_T0_PN15function_traitsISD_E11result_typeE
; %bb.0:
	s_load_dword s3, s[0:1], 0x4c
	s_load_dwordx2 s[22:23], s[0:1], 0x0
	s_add_u32 s4, s0, 64
	s_addc_u32 s5, s1, 0
	v_mov_b32_e32 v1, 0
	s_waitcnt lgkmcnt(0)
	s_and_b32 s3, s3, 0xffff
	v_mov_b32_e32 v2, s2
	v_mad_u64_u32 v[22:23], s[6:7], s3, v2, v[0:1]
	v_cmp_gt_i64_e32 vcc, s[22:23], v[22:23]
	s_mov_b32 s32, 0
	s_and_saveexec_b64 s[6:7], vcc
	s_cbranch_execz .LBB41_7
; %bb.1:
	s_load_dwordx4 s[36:39], s[0:1], 0x30
	s_load_dword s2, s[4:5], 0x0
	s_load_dwordx2 s[34:35], s[0:1], 0x28
	s_load_dwordx8 s[24:31], s[0:1], 0x8
	v_not_b32_e32 v3, v23
	s_waitcnt lgkmcnt(0)
	v_mov_b32_e32 v0, s38
	v_mov_b32_e32 v1, s39
	s_mul_hi_u32 s39, s3, s2
	s_mul_i32 s38, s3, s2
	v_not_b32_e32 v2, v22
	v_lshl_add_u64 v[0:1], v[22:23], 3, v[0:1]
	v_lshl_add_u64 v[24:25], v[2:3], 0, s[30:31]
	;; [unrolled: 1-line block ×3, first 2 shown]
	s_lshl_b64 s[40:41], s[38:39], 3
	s_mov_b64 s[42:43], 0
	v_mov_b32_e32 v21, s39
	s_branch .LBB41_3
.LBB41_2:                               ;   in Loop: Header=BB41_3 Depth=1
	s_or_b64 exec, exec, s[44:45]
	v_subrev_co_u32_e32 v24, vcc, s38, v24
	v_lshl_add_u64 v[22:23], v[22:23], 0, s[38:39]
	s_nop 0
	v_subb_co_u32_e32 v25, vcc, v25, v21, vcc
	v_cmp_le_i64_e32 vcc, s[22:23], v[22:23]
	global_store_dwordx2 v[26:27], v[0:1], off offset:-4
	s_or_b64 s[42:43], vcc, s[42:43]
	v_lshl_add_u64 v[26:27], v[26:27], 0, s[40:41]
	s_andn2_b64 exec, exec, s[42:43]
	s_cbranch_execz .LBB41_7
.LBB41_3:                               ; =>This Inner Loop Header: Depth=1
	v_cmp_le_i64_e32 vcc, s[36:37], v[22:23]
                                        ; implicit-def: $vgpr0
	s_and_saveexec_b64 s[0:1], vcc
	s_xor_b64 s[44:45], exec, s[0:1]
	s_cbranch_execz .LBB41_5
; %bb.4:                                ;   in Loop: Header=BB41_3 Depth=1
	v_xor_b32_e32 v1, v24, v25
	v_ffbh_i32_e32 v0, v25
	v_ashrrev_i32_e32 v1, 31, v1
	v_add_u32_e32 v0, -1, v0
	v_add_u32_e32 v1, 32, v1
	v_min_u32_e32 v2, v0, v1
	v_lshlrev_b64 v[0:1], v2, v[24:25]
	v_min_u32_e32 v0, 1, v0
	v_or_b32_e32 v0, v1, v0
	v_cvt_f32_i32_e32 v0, v0
	v_sub_u32_e32 v1, 32, v2
	s_getpc_b64 s[0:1]
	s_add_u32 s0, s0, _ZN16c10_complex_math3powIfEEN3c107complexIT_EERKS4_S6_@rel32@lo+4
	s_addc_u32 s1, s1, _ZN16c10_complex_math3powIfEEN3c107complexIT_EERKS4_S6_@rel32@hi+12
	v_ldexp_f32 v0, v0, v1
	v_mov_b32_e32 v1, s26
	v_fma_f32 v2, -s34, v0, v1
	v_mov_b32_e32 v1, s27
	v_fma_f32 v3, -s35, v0, v1
	v_mov_b32_e32 v0, s28
	v_mov_b32_e32 v1, s29
	s_swappc_b64 s[30:31], s[0:1]
.LBB41_5:                               ;   in Loop: Header=BB41_3 Depth=1
	s_andn2_saveexec_b64 s[44:45], s[44:45]
	s_cbranch_execz .LBB41_2
; %bb.6:                                ;   in Loop: Header=BB41_3 Depth=1
	v_ffbh_u32_e32 v0, v23
	v_min_u32_e32 v2, 32, v0
	v_lshlrev_b64 v[0:1], v2, v[22:23]
	v_min_u32_e32 v0, 1, v0
	v_or_b32_e32 v0, v1, v0
	v_cvt_f32_u32_e32 v0, v0
	v_sub_u32_e32 v2, 32, v2
	v_mov_b32_e32 v1, s24
	v_mov_b32_e32 v3, s25
	v_ldexp_f32 v0, v0, v2
	v_fma_f32 v2, s34, v0, v1
	v_fma_f32 v3, s35, v0, v3
	s_getpc_b64 s[0:1]
	s_add_u32 s0, s0, _ZN16c10_complex_math3powIfEEN3c107complexIT_EERKS4_S6_@rel32@lo+4
	s_addc_u32 s1, s1, _ZN16c10_complex_math3powIfEEN3c107complexIT_EERKS4_S6_@rel32@hi+12
	v_mov_b32_e32 v0, s28
	v_mov_b32_e32 v1, s29
	s_swappc_b64 s[30:31], s[0:1]
	s_branch .LBB41_2
.LBB41_7:
	s_endpgm
	.section	.rodata,"a",@progbits
	.p2align	6, 0x0
	.amdhsa_kernel _ZN12_GLOBAL__N_141elementwise_kernel_with_index_grid_strideIlZZZN2at6native17logspace_cuda_outERKN3c106ScalarES6_ldRNS1_6TensorEENKUlvE0_clEvENKUlvE2_clEvEUllE_EEvT_T0_PN15function_traitsISD_E11result_typeE
		.amdhsa_group_segment_fixed_size 0
		.amdhsa_private_segment_fixed_size 0
		.amdhsa_kernarg_size 320
		.amdhsa_user_sgpr_count 2
		.amdhsa_user_sgpr_dispatch_ptr 0
		.amdhsa_user_sgpr_queue_ptr 0
		.amdhsa_user_sgpr_kernarg_segment_ptr 1
		.amdhsa_user_sgpr_dispatch_id 0
		.amdhsa_user_sgpr_kernarg_preload_length 0
		.amdhsa_user_sgpr_kernarg_preload_offset 0
		.amdhsa_user_sgpr_private_segment_size 0
		.amdhsa_uses_dynamic_stack 0
		.amdhsa_enable_private_segment 0
		.amdhsa_system_sgpr_workgroup_id_x 1
		.amdhsa_system_sgpr_workgroup_id_y 0
		.amdhsa_system_sgpr_workgroup_id_z 0
		.amdhsa_system_sgpr_workgroup_info 0
		.amdhsa_system_vgpr_workitem_id 0
		.amdhsa_next_free_vgpr 28
		.amdhsa_next_free_sgpr 46
		.amdhsa_accum_offset 28
		.amdhsa_reserve_vcc 1
		.amdhsa_float_round_mode_32 0
		.amdhsa_float_round_mode_16_64 0
		.amdhsa_float_denorm_mode_32 3
		.amdhsa_float_denorm_mode_16_64 3
		.amdhsa_dx10_clamp 1
		.amdhsa_ieee_mode 1
		.amdhsa_fp16_overflow 0
		.amdhsa_tg_split 0
		.amdhsa_exception_fp_ieee_invalid_op 0
		.amdhsa_exception_fp_denorm_src 0
		.amdhsa_exception_fp_ieee_div_zero 0
		.amdhsa_exception_fp_ieee_overflow 0
		.amdhsa_exception_fp_ieee_underflow 0
		.amdhsa_exception_fp_ieee_inexact 0
		.amdhsa_exception_int_div_zero 0
	.end_amdhsa_kernel
	.section	.text._ZN12_GLOBAL__N_141elementwise_kernel_with_index_grid_strideIlZZZN2at6native17logspace_cuda_outERKN3c106ScalarES6_ldRNS1_6TensorEENKUlvE0_clEvENKUlvE2_clEvEUllE_EEvT_T0_PN15function_traitsISD_E11result_typeE,"axG",@progbits,_ZN12_GLOBAL__N_141elementwise_kernel_with_index_grid_strideIlZZZN2at6native17logspace_cuda_outERKN3c106ScalarES6_ldRNS1_6TensorEENKUlvE0_clEvENKUlvE2_clEvEUllE_EEvT_T0_PN15function_traitsISD_E11result_typeE,comdat
.Lfunc_end41:
	.size	_ZN12_GLOBAL__N_141elementwise_kernel_with_index_grid_strideIlZZZN2at6native17logspace_cuda_outERKN3c106ScalarES6_ldRNS1_6TensorEENKUlvE0_clEvENKUlvE2_clEvEUllE_EEvT_T0_PN15function_traitsISD_E11result_typeE, .Lfunc_end41-_ZN12_GLOBAL__N_141elementwise_kernel_with_index_grid_strideIlZZZN2at6native17logspace_cuda_outERKN3c106ScalarES6_ldRNS1_6TensorEENKUlvE0_clEvENKUlvE2_clEvEUllE_EEvT_T0_PN15function_traitsISD_E11result_typeE
                                        ; -- End function
	.set _ZN12_GLOBAL__N_141elementwise_kernel_with_index_grid_strideIlZZZN2at6native17logspace_cuda_outERKN3c106ScalarES6_ldRNS1_6TensorEENKUlvE0_clEvENKUlvE2_clEvEUllE_EEvT_T0_PN15function_traitsISD_E11result_typeE.num_vgpr, max(28, .L_ZN16c10_complex_math3powIfEEN3c107complexIT_EERKS4_S6_.num_vgpr)
	.set _ZN12_GLOBAL__N_141elementwise_kernel_with_index_grid_strideIlZZZN2at6native17logspace_cuda_outERKN3c106ScalarES6_ldRNS1_6TensorEENKUlvE0_clEvENKUlvE2_clEvEUllE_EEvT_T0_PN15function_traitsISD_E11result_typeE.num_agpr, max(0, .L_ZN16c10_complex_math3powIfEEN3c107complexIT_EERKS4_S6_.num_agpr)
	.set _ZN12_GLOBAL__N_141elementwise_kernel_with_index_grid_strideIlZZZN2at6native17logspace_cuda_outERKN3c106ScalarES6_ldRNS1_6TensorEENKUlvE0_clEvENKUlvE2_clEvEUllE_EEvT_T0_PN15function_traitsISD_E11result_typeE.numbered_sgpr, max(46, .L_ZN16c10_complex_math3powIfEEN3c107complexIT_EERKS4_S6_.numbered_sgpr)
	.set _ZN12_GLOBAL__N_141elementwise_kernel_with_index_grid_strideIlZZZN2at6native17logspace_cuda_outERKN3c106ScalarES6_ldRNS1_6TensorEENKUlvE0_clEvENKUlvE2_clEvEUllE_EEvT_T0_PN15function_traitsISD_E11result_typeE.num_named_barrier, max(0, .L_ZN16c10_complex_math3powIfEEN3c107complexIT_EERKS4_S6_.num_named_barrier)
	.set _ZN12_GLOBAL__N_141elementwise_kernel_with_index_grid_strideIlZZZN2at6native17logspace_cuda_outERKN3c106ScalarES6_ldRNS1_6TensorEENKUlvE0_clEvENKUlvE2_clEvEUllE_EEvT_T0_PN15function_traitsISD_E11result_typeE.private_seg_size, 0+max(.L_ZN16c10_complex_math3powIfEEN3c107complexIT_EERKS4_S6_.private_seg_size)
	.set _ZN12_GLOBAL__N_141elementwise_kernel_with_index_grid_strideIlZZZN2at6native17logspace_cuda_outERKN3c106ScalarES6_ldRNS1_6TensorEENKUlvE0_clEvENKUlvE2_clEvEUllE_EEvT_T0_PN15function_traitsISD_E11result_typeE.uses_vcc, or(1, .L_ZN16c10_complex_math3powIfEEN3c107complexIT_EERKS4_S6_.uses_vcc)
	.set _ZN12_GLOBAL__N_141elementwise_kernel_with_index_grid_strideIlZZZN2at6native17logspace_cuda_outERKN3c106ScalarES6_ldRNS1_6TensorEENKUlvE0_clEvENKUlvE2_clEvEUllE_EEvT_T0_PN15function_traitsISD_E11result_typeE.uses_flat_scratch, or(0, .L_ZN16c10_complex_math3powIfEEN3c107complexIT_EERKS4_S6_.uses_flat_scratch)
	.set _ZN12_GLOBAL__N_141elementwise_kernel_with_index_grid_strideIlZZZN2at6native17logspace_cuda_outERKN3c106ScalarES6_ldRNS1_6TensorEENKUlvE0_clEvENKUlvE2_clEvEUllE_EEvT_T0_PN15function_traitsISD_E11result_typeE.has_dyn_sized_stack, or(0, .L_ZN16c10_complex_math3powIfEEN3c107complexIT_EERKS4_S6_.has_dyn_sized_stack)
	.set _ZN12_GLOBAL__N_141elementwise_kernel_with_index_grid_strideIlZZZN2at6native17logspace_cuda_outERKN3c106ScalarES6_ldRNS1_6TensorEENKUlvE0_clEvENKUlvE2_clEvEUllE_EEvT_T0_PN15function_traitsISD_E11result_typeE.has_recursion, or(0, .L_ZN16c10_complex_math3powIfEEN3c107complexIT_EERKS4_S6_.has_recursion)
	.set _ZN12_GLOBAL__N_141elementwise_kernel_with_index_grid_strideIlZZZN2at6native17logspace_cuda_outERKN3c106ScalarES6_ldRNS1_6TensorEENKUlvE0_clEvENKUlvE2_clEvEUllE_EEvT_T0_PN15function_traitsISD_E11result_typeE.has_indirect_call, or(0, .L_ZN16c10_complex_math3powIfEEN3c107complexIT_EERKS4_S6_.has_indirect_call)
	.section	.AMDGPU.csdata,"",@progbits
; Kernel info:
; codeLenInByte = 464
; TotalNumSgprs: 52
; NumVgprs: 28
; NumAgprs: 0
; TotalNumVgprs: 28
; ScratchSize: 0
; MemoryBound: 0
; FloatMode: 240
; IeeeMode: 1
; LDSByteSize: 0 bytes/workgroup (compile time only)
; SGPRBlocks: 6
; VGPRBlocks: 3
; NumSGPRsForWavesPerEU: 52
; NumVGPRsForWavesPerEU: 28
; AccumOffset: 28
; Occupancy: 8
; WaveLimiterHint : 0
; COMPUTE_PGM_RSRC2:SCRATCH_EN: 0
; COMPUTE_PGM_RSRC2:USER_SGPR: 2
; COMPUTE_PGM_RSRC2:TRAP_HANDLER: 0
; COMPUTE_PGM_RSRC2:TGID_X_EN: 1
; COMPUTE_PGM_RSRC2:TGID_Y_EN: 0
; COMPUTE_PGM_RSRC2:TGID_Z_EN: 0
; COMPUTE_PGM_RSRC2:TIDIG_COMP_CNT: 0
; COMPUTE_PGM_RSRC3_GFX90A:ACCUM_OFFSET: 6
; COMPUTE_PGM_RSRC3_GFX90A:TG_SPLIT: 0
	.section	.text._ZN12_GLOBAL__N_141elementwise_kernel_with_index_grid_strideIiZZZN2at6native17logspace_cuda_outERKN3c106ScalarES6_ldRNS1_6TensorEENKUlvE0_clEvENKUlvE3_clEvEUllE_EEvT_T0_PN15function_traitsISD_E11result_typeE,"axG",@progbits,_ZN12_GLOBAL__N_141elementwise_kernel_with_index_grid_strideIiZZZN2at6native17logspace_cuda_outERKN3c106ScalarES6_ldRNS1_6TensorEENKUlvE0_clEvENKUlvE3_clEvEUllE_EEvT_T0_PN15function_traitsISD_E11result_typeE,comdat
	.globl	_ZN12_GLOBAL__N_141elementwise_kernel_with_index_grid_strideIiZZZN2at6native17logspace_cuda_outERKN3c106ScalarES6_ldRNS1_6TensorEENKUlvE0_clEvENKUlvE3_clEvEUllE_EEvT_T0_PN15function_traitsISD_E11result_typeE ; -- Begin function _ZN12_GLOBAL__N_141elementwise_kernel_with_index_grid_strideIiZZZN2at6native17logspace_cuda_outERKN3c106ScalarES6_ldRNS1_6TensorEENKUlvE0_clEvENKUlvE3_clEvEUllE_EEvT_T0_PN15function_traitsISD_E11result_typeE
	.p2align	8
	.type	_ZN12_GLOBAL__N_141elementwise_kernel_with_index_grid_strideIiZZZN2at6native17logspace_cuda_outERKN3c106ScalarES6_ldRNS1_6TensorEENKUlvE0_clEvENKUlvE3_clEvEUllE_EEvT_T0_PN15function_traitsISD_E11result_typeE,@function
_ZN12_GLOBAL__N_141elementwise_kernel_with_index_grid_strideIiZZZN2at6native17logspace_cuda_outERKN3c106ScalarES6_ldRNS1_6TensorEENKUlvE0_clEvENKUlvE3_clEvEUllE_EEvT_T0_PN15function_traitsISD_E11result_typeE: ; @_ZN12_GLOBAL__N_141elementwise_kernel_with_index_grid_strideIiZZZN2at6native17logspace_cuda_outERKN3c106ScalarES6_ldRNS1_6TensorEENKUlvE0_clEvENKUlvE3_clEvEUllE_EEvT_T0_PN15function_traitsISD_E11result_typeE
; %bb.0:
	s_load_dword s3, s[0:1], 0x3c
	s_load_dword s16, s[0:1], 0x0
	s_add_u32 s12, s0, 48
	s_addc_u32 s13, s1, 0
	s_waitcnt lgkmcnt(0)
	s_and_b32 s3, s3, 0xffff
	s_mul_i32 s2, s2, s3
	v_add_u32_e32 v0, s2, v0
	v_cmp_gt_i32_e32 vcc, s16, v0
	s_and_saveexec_b64 s[4:5], vcc
	s_cbranch_execz .LBB42_7
; %bb.1:
	s_load_dwordx4 s[4:7], s[0:1], 0x20
	s_load_dwordx4 s[8:11], s[0:1], 0x8
	s_load_dword s2, s[12:13], 0x0
	s_load_dword s17, s[0:1], 0x18
	v_ashrrev_i32_e32 v1, 31, v0
	s_waitcnt lgkmcnt(0)
	v_mov_b32_e32 v4, s6
	v_cvt_f32_f16_e32 v6, s9
	s_mul_i32 s6, s2, s3
	v_mov_b32_e32 v5, s7
	v_not_b32_e32 v3, v1
	v_not_b32_e32 v2, v0
	s_ashr_i32 s7, s6, 31
                                        ; implicit-def: $vgpr8
	s_lshr_b32 s18, s8, 16
	v_cmp_eq_f16_e64 s[12:13], s9, 1.0
	v_lshl_add_u64 v[2:3], v[2:3], 0, s[10:11]
	v_lshl_add_u64 v[4:5], v[0:1], 1, v[4:5]
	s_lshl_b64 s[10:11], s[6:7], 1
	s_mov_b64 s[14:15], 0
	s_mov_b32 s9, 0x3f2aaaab
	v_mov_b32_e32 v7, 0x3e91f4c4
	s_mov_b32 s19, 0x3f317218
	s_movk_i32 s20, 0x204
	s_mov_b32 s21, 0x7f800000
	s_mov_b32 s22, 0x42b17218
	v_mov_b32_e32 v8, 0x37000000
	s_mov_b32 s23, 0x3fb8aa3b
	s_mov_b32 s24, 0xc2ce8ed0
	v_mov_b32_e32 v9, 0x7f800000
	s_brev_b32 s25, -2
	v_mov_b32_e32 v10, 0x7fc00000
	v_mov_b32_e32 v11, s7
	s_branch .LBB42_3
.LBB42_2:                               ;   in Loop: Header=BB42_3 Depth=1
	s_or_b64 exec, exec, s[0:1]
	v_cvt_f32_f16_e32 v12, v12
	v_lshl_add_u64 v[0:1], v[0:1], 0, s[6:7]
	v_cndmask_b32_e64 v26, v12, 1.0, s[12:13]
	v_cmp_neq_f32_e32 vcc, 0, v26
	v_cmp_neq_f32_e64 s[2:3], v26, |v26|
	s_nop 0
	v_cndmask_b32_e32 v27, 1.0, v6, vcc
	v_frexp_mant_f32_e64 v12, |v27|
	v_cmp_gt_f32_e32 vcc, s9, v12
	v_cmp_lt_f32_e64 s[26:27], |v27|, 1.0
	s_xor_b64 s[2:3], s[2:3], s[26:27]
	v_cndmask_b32_e64 v13, 1.0, 2.0, vcc
	v_mul_f32_e32 v12, v12, v13
	v_add_f32_e32 v15, 1.0, v12
	v_rcp_f32_e32 v18, v15
	v_add_f32_e32 v13, -1.0, v12
	v_add_f32_e32 v14, -1.0, v15
	v_sub_f32_e32 v12, v12, v14
	v_mul_f32_e32 v19, v13, v18
	v_mul_f32_e32 v14, v15, v19
	v_fma_f32 v16, v19, v15, -v14
	v_fmac_f32_e32 v16, v19, v12
	v_add_f32_e32 v12, v14, v16
	v_sub_f32_e32 v15, v13, v12
	v_mov_b32_e32 v17, v12
	v_pk_add_f32 v[12:13], v[12:13], v[14:15] neg_lo:[0,1] neg_hi:[0,1]
	v_cmp_class_f32_e64 s[26:27], v27, s20
	v_pk_add_f32 v[12:13], v[12:13], v[16:17] neg_lo:[0,1] neg_hi:[0,1]
	s_nop 0
	v_add_f32_e32 v12, v12, v13
	v_add_f32_e32 v12, v15, v12
	v_mul_f32_e32 v13, v18, v12
	v_add_f32_e32 v12, v19, v13
	v_sub_f32_e32 v14, v12, v19
	v_sub_f32_e32 v22, v13, v14
	v_mul_f32_e32 v13, v12, v12
	v_fma_f32 v15, v12, v12, -v13
	v_add_f32_e32 v14, v22, v22
	v_fmac_f32_e32 v15, v12, v14
	v_add_f32_e32 v14, v13, v15
	v_fmamk_f32 v16, v14, 0x3e76c4e1, v7
	v_fmaak_f32 v16, v14, v16, 0x3ecccdef
	v_sub_f32_e32 v13, v14, v13
	v_sub_f32_e32 v23, v15, v13
	v_mul_f32_e32 v13, v14, v16
	v_fma_f32 v15, v14, v16, -v13
	v_fmac_f32_e32 v15, v23, v16
	v_add_f32_e32 v16, v13, v15
	v_add_f32_e32 v17, 0x3f2aaaaa, v16
	v_sub_f32_e32 v13, v16, v13
	v_sub_f32_e32 v13, v15, v13
	v_add_f32_e32 v15, 0xbf2aaaaa, v17
	v_add_f32_e32 v13, 0x31739010, v13
	v_sub_f32_e32 v15, v16, v15
	v_pk_mul_f32 v[18:19], v[12:13], v[14:15]
	v_pk_add_f32 v[20:21], v[12:13], v[14:15]
	v_fma_f32 v16, v14, v12, -v18
	v_fmac_f32_e32 v16, v14, v22
	v_mov_b32_e32 v19, v21
	v_fmac_f32_e32 v16, v23, v12
	v_pk_add_f32 v[14:15], v[18:19], v[16:17]
	v_ldexp_f32 v24, v22, 1
	v_sub_f32_e32 v13, v14, v18
	v_sub_f32_e32 v13, v16, v13
	;; [unrolled: 1-line block ×3, first 2 shown]
	v_add_f32_e32 v20, v21, v16
	v_pk_mul_f32 v[16:17], v[14:15], v[14:15] op_sel:[0,1] op_sel_hi:[1,0]
	v_cvt_f64_f32_e64 v[18:19], |v27|
	v_frexp_exp_i32_f64_e32 v17, v[18:19]
	v_subbrev_co_u32_e32 v17, vcc, 0, v17, vcc
	v_cvt_f32_i32_e32 v17, v17
	v_fma_f32 v18, v14, v15, -v16
	v_fmac_f32_e32 v18, v14, v20
	v_fmac_f32_e32 v18, v13, v15
	v_mul_f32_e32 v14, 0x3f317218, v17
	v_fma_f32 v20, v17, s19, -v14
	v_fmac_f32_e32 v20, 0xb102e308, v17
	v_ldexp_f32 v21, v12, 1
	v_add_f32_e32 v15, v16, v18
	v_pk_add_f32 v[12:13], v[14:15], v[20:21]
	v_mov_b32_e32 v22, v15
	v_mov_b32_e32 v23, v13
	v_mov_b32_e32 v17, v21
	v_pk_add_f32 v[16:17], v[22:23], v[16:17] neg_lo:[0,1] neg_hi:[0,1]
	v_mov_b32_e32 v19, v15
	v_pk_add_f32 v[16:17], v[18:19], v[16:17] neg_lo:[0,1] neg_hi:[0,1]
	v_mov_b32_e32 v21, v12
	v_add_f32_e32 v15, v24, v16
	v_add_f32_e32 v15, v15, v17
	v_pk_add_f32 v[16:17], v[12:13], v[14:15] neg_lo:[0,1] neg_hi:[0,1]
	v_pk_add_f32 v[18:19], v[12:13], v[14:15]
	v_mov_b32_e32 v14, v15
	v_mov_b32_e32 v17, v19
	v_pk_add_f32 v[22:23], v[20:21], v[16:17] neg_lo:[0,1] neg_hi:[0,1]
	v_pk_add_f32 v[16:17], v[20:21], v[16:17]
	v_mov_b32_e32 v15, v12
	v_pk_add_f32 v[20:21], v[16:17], v[12:13] op_sel:[1,0] op_sel_hi:[0,1] neg_lo:[0,1] neg_hi:[0,1]
	v_pk_add_f32 v[24:25], v[18:19], v[20:21] op_sel_hi:[1,0] neg_lo:[0,1] neg_hi:[0,1]
	v_mov_b32_e32 v18, v19
	v_mov_b32_e32 v19, v17
	v_pk_mov_b32 v[20:21], v[12:13], v[20:21] op_sel:[1,0]
	v_mov_b32_e32 v24, v22
	v_pk_add_f32 v[18:19], v[18:19], v[20:21] neg_lo:[0,1] neg_hi:[0,1]
	v_mov_b32_e32 v23, v17
	v_pk_add_f32 v[12:13], v[14:15], v[18:19] neg_lo:[0,1] neg_hi:[0,1]
	s_nop 0
	v_pk_add_f32 v[14:15], v[24:25], v[12:13]
	s_nop 0
	v_pk_add_f32 v[18:19], v[14:15], v[14:15] op_sel:[0,1] op_sel_hi:[1,0]
	s_nop 0
	v_pk_add_f32 v[16:17], v[16:17], v[18:19] op_sel:[1,0] op_sel_hi:[0,1]
	v_mov_b32_e32 v15, v16
	v_pk_add_f32 v[20:21], v[14:15], v[22:23] neg_lo:[0,1] neg_hi:[0,1]
	v_mov_b32_e32 v13, v18
	v_sub_f32_e32 v14, v14, v20
	v_pk_add_f32 v[12:13], v[12:13], v[20:21] neg_lo:[0,1] neg_hi:[0,1]
	v_sub_f32_e32 v14, v22, v14
	v_add_f32_e32 v12, v12, v14
	v_add_f32_e32 v12, v12, v13
	;; [unrolled: 1-line block ×3, first 2 shown]
	v_sub_f32_e32 v14, v13, v16
	v_sub_f32_e32 v12, v12, v14
	v_mul_f32_e32 v14, v26, v13
	v_fma_f32 v13, v26, v13, -v14
	v_fmac_f32_e32 v13, v26, v12
	v_add_f32_e32 v12, v14, v13
	v_cmp_class_f32_e64 vcc, v14, s20
	v_sub_f32_e32 v15, v12, v14
	v_sub_f32_e32 v13, v13, v15
	v_cndmask_b32_e32 v12, v12, v14, vcc
	v_cmp_eq_f32_e32 vcc, s22, v12
	s_nop 1
	v_cndmask_b32_e32 v14, 0, v8, vcc
	v_sub_f32_e32 v15, v12, v14
	v_mul_f32_e32 v16, 0x3fb8aa3b, v15
	v_fma_f32 v17, v15, s23, -v16
	v_rndne_f32_e32 v18, v16
	v_fmac_f32_e32 v17, 0x32a5705f, v15
	v_sub_f32_e32 v16, v16, v18
	v_add_f32_e32 v16, v16, v17
	v_exp_f32_e32 v16, v16
	v_cvt_i32_f32_e32 v17, v18
	v_cmp_neq_f32_e64 vcc, |v12|, s21
	s_nop 1
	v_cndmask_b32_e32 v12, 0, v13, vcc
	v_ldexp_f32 v13, v16, v17
	v_cmp_ngt_f32_e32 vcc, s24, v15
	v_add_f32_e32 v12, v14, v12
	s_nop 0
	v_cndmask_b32_e32 v13, 0, v13, vcc
	v_cmp_nlt_f32_e32 vcc, s22, v15
	s_nop 1
	v_cndmask_b32_e32 v13, v9, v13, vcc
	v_fma_f32 v12, v13, v12, v13
	v_cmp_class_f32_e64 vcc, v13, s20
	s_nop 1
	v_cndmask_b32_e32 v12, v12, v13, vcc
	v_trunc_f32_e32 v13, v26
	v_cmp_eq_f32_e32 vcc, v13, v26
	v_mul_f32_e32 v13, 0.5, v26
	v_trunc_f32_e32 v14, v13
	v_cmp_neq_f32_e64 s[0:1], v14, v13
	s_and_b64 s[0:1], vcc, s[0:1]
	s_nop 0
	v_cndmask_b32_e64 v13, 1.0, v27, s[0:1]
	v_bfi_b32 v12, s25, v12, v13
	v_cndmask_b32_e32 v13, v10, v12, vcc
	v_cmp_gt_f32_e32 vcc, 0, v27
	v_cndmask_b32_e64 v14, 0, v27, s[0:1]
	s_nop 0
	v_cndmask_b32_e32 v12, v12, v13, vcc
	v_cndmask_b32_e64 v13, v9, 0, s[2:3]
	v_cmp_neq_f32_e64 vcc, |v27|, 1.0
	v_cmp_gt_f32_e64 s[2:3], 0, v26
	s_nop 0
	v_cndmask_b32_e32 v13, 1.0, v13, vcc
	v_cmp_class_f32_e64 vcc, v26, s20
	s_nop 1
	v_cndmask_b32_e32 v12, v12, v13, vcc
	v_cmp_eq_f32_e32 vcc, 0, v27
	s_xor_b64 s[2:3], s[2:3], vcc
	v_cndmask_b32_e64 v13, v9, 0, s[2:3]
	v_bfi_b32 v13, s25, v13, v14
	s_or_b64 vcc, vcc, s[26:27]
	v_cndmask_b32_e32 v12, v12, v13, vcc
	v_cmp_o_f32_e32 vcc, v27, v26
	s_nop 1
	v_cndmask_b32_e32 v12, v10, v12, vcc
	v_cvt_f16_f32_e32 v12, v12
	v_subrev_co_u32_e32 v2, vcc, s6, v2
	global_store_short v[4:5], v12, off
	s_nop 0
	v_subb_co_u32_e32 v3, vcc, v3, v11, vcc
	v_cmp_le_i32_e32 vcc, s16, v0
	s_or_b64 s[14:15], vcc, s[14:15]
	v_lshl_add_u64 v[4:5], v[4:5], 0, s[10:11]
	s_andn2_b64 exec, exec, s[14:15]
	s_cbranch_execz .LBB42_7
.LBB42_3:                               ; =>This Inner Loop Header: Depth=1
	v_cmp_le_i64_e32 vcc, s[4:5], v[0:1]
                                        ; implicit-def: $vgpr12
	s_and_saveexec_b64 s[0:1], vcc
	s_xor_b64 s[0:1], exec, s[0:1]
	s_cbranch_execz .LBB42_5
; %bb.4:                                ;   in Loop: Header=BB42_3 Depth=1
	v_xor_b32_e32 v13, v2, v3
	v_ffbh_i32_e32 v12, v3
	v_ashrrev_i32_e32 v13, 31, v13
	v_add_u32_e32 v12, -1, v12
	v_add_u32_e32 v13, 32, v13
	v_min_u32_e32 v14, v12, v13
	v_lshlrev_b64 v[12:13], v14, v[2:3]
	v_min_u32_e32 v12, 1, v12
	v_or_b32_e32 v12, v13, v12
	v_cvt_f32_i32_e32 v12, v12
	v_sub_u32_e32 v13, 32, v14
	v_ldexp_f32 v12, v12, v13
	v_cvt_f16_f32_e32 v12, v12
	v_mov_b32_e32 v13, s18
	v_fma_f16 v12, -s17, v12, v13
.LBB42_5:                               ;   in Loop: Header=BB42_3 Depth=1
	s_andn2_saveexec_b64 s[0:1], s[0:1]
	s_cbranch_execz .LBB42_2
; %bb.6:                                ;   in Loop: Header=BB42_3 Depth=1
	v_cvt_f32_i32_e32 v12, v0
	v_mov_b32_e32 v13, s8
	v_cvt_f16_f32_e32 v12, v12
	v_fma_f16 v12, s17, v12, v13
	s_branch .LBB42_2
.LBB42_7:
	s_endpgm
	.section	.rodata,"a",@progbits
	.p2align	6, 0x0
	.amdhsa_kernel _ZN12_GLOBAL__N_141elementwise_kernel_with_index_grid_strideIiZZZN2at6native17logspace_cuda_outERKN3c106ScalarES6_ldRNS1_6TensorEENKUlvE0_clEvENKUlvE3_clEvEUllE_EEvT_T0_PN15function_traitsISD_E11result_typeE
		.amdhsa_group_segment_fixed_size 0
		.amdhsa_private_segment_fixed_size 0
		.amdhsa_kernarg_size 304
		.amdhsa_user_sgpr_count 2
		.amdhsa_user_sgpr_dispatch_ptr 0
		.amdhsa_user_sgpr_queue_ptr 0
		.amdhsa_user_sgpr_kernarg_segment_ptr 1
		.amdhsa_user_sgpr_dispatch_id 0
		.amdhsa_user_sgpr_kernarg_preload_length 0
		.amdhsa_user_sgpr_kernarg_preload_offset 0
		.amdhsa_user_sgpr_private_segment_size 0
		.amdhsa_uses_dynamic_stack 0
		.amdhsa_enable_private_segment 0
		.amdhsa_system_sgpr_workgroup_id_x 1
		.amdhsa_system_sgpr_workgroup_id_y 0
		.amdhsa_system_sgpr_workgroup_id_z 0
		.amdhsa_system_sgpr_workgroup_info 0
		.amdhsa_system_vgpr_workitem_id 0
		.amdhsa_next_free_vgpr 28
		.amdhsa_next_free_sgpr 28
		.amdhsa_accum_offset 28
		.amdhsa_reserve_vcc 1
		.amdhsa_float_round_mode_32 0
		.amdhsa_float_round_mode_16_64 0
		.amdhsa_float_denorm_mode_32 3
		.amdhsa_float_denorm_mode_16_64 3
		.amdhsa_dx10_clamp 1
		.amdhsa_ieee_mode 1
		.amdhsa_fp16_overflow 0
		.amdhsa_tg_split 0
		.amdhsa_exception_fp_ieee_invalid_op 0
		.amdhsa_exception_fp_denorm_src 0
		.amdhsa_exception_fp_ieee_div_zero 0
		.amdhsa_exception_fp_ieee_overflow 0
		.amdhsa_exception_fp_ieee_underflow 0
		.amdhsa_exception_fp_ieee_inexact 0
		.amdhsa_exception_int_div_zero 0
	.end_amdhsa_kernel
	.section	.text._ZN12_GLOBAL__N_141elementwise_kernel_with_index_grid_strideIiZZZN2at6native17logspace_cuda_outERKN3c106ScalarES6_ldRNS1_6TensorEENKUlvE0_clEvENKUlvE3_clEvEUllE_EEvT_T0_PN15function_traitsISD_E11result_typeE,"axG",@progbits,_ZN12_GLOBAL__N_141elementwise_kernel_with_index_grid_strideIiZZZN2at6native17logspace_cuda_outERKN3c106ScalarES6_ldRNS1_6TensorEENKUlvE0_clEvENKUlvE3_clEvEUllE_EEvT_T0_PN15function_traitsISD_E11result_typeE,comdat
.Lfunc_end42:
	.size	_ZN12_GLOBAL__N_141elementwise_kernel_with_index_grid_strideIiZZZN2at6native17logspace_cuda_outERKN3c106ScalarES6_ldRNS1_6TensorEENKUlvE0_clEvENKUlvE3_clEvEUllE_EEvT_T0_PN15function_traitsISD_E11result_typeE, .Lfunc_end42-_ZN12_GLOBAL__N_141elementwise_kernel_with_index_grid_strideIiZZZN2at6native17logspace_cuda_outERKN3c106ScalarES6_ldRNS1_6TensorEENKUlvE0_clEvENKUlvE3_clEvEUllE_EEvT_T0_PN15function_traitsISD_E11result_typeE
                                        ; -- End function
	.set _ZN12_GLOBAL__N_141elementwise_kernel_with_index_grid_strideIiZZZN2at6native17logspace_cuda_outERKN3c106ScalarES6_ldRNS1_6TensorEENKUlvE0_clEvENKUlvE3_clEvEUllE_EEvT_T0_PN15function_traitsISD_E11result_typeE.num_vgpr, 28
	.set _ZN12_GLOBAL__N_141elementwise_kernel_with_index_grid_strideIiZZZN2at6native17logspace_cuda_outERKN3c106ScalarES6_ldRNS1_6TensorEENKUlvE0_clEvENKUlvE3_clEvEUllE_EEvT_T0_PN15function_traitsISD_E11result_typeE.num_agpr, 0
	.set _ZN12_GLOBAL__N_141elementwise_kernel_with_index_grid_strideIiZZZN2at6native17logspace_cuda_outERKN3c106ScalarES6_ldRNS1_6TensorEENKUlvE0_clEvENKUlvE3_clEvEUllE_EEvT_T0_PN15function_traitsISD_E11result_typeE.numbered_sgpr, 28
	.set _ZN12_GLOBAL__N_141elementwise_kernel_with_index_grid_strideIiZZZN2at6native17logspace_cuda_outERKN3c106ScalarES6_ldRNS1_6TensorEENKUlvE0_clEvENKUlvE3_clEvEUllE_EEvT_T0_PN15function_traitsISD_E11result_typeE.num_named_barrier, 0
	.set _ZN12_GLOBAL__N_141elementwise_kernel_with_index_grid_strideIiZZZN2at6native17logspace_cuda_outERKN3c106ScalarES6_ldRNS1_6TensorEENKUlvE0_clEvENKUlvE3_clEvEUllE_EEvT_T0_PN15function_traitsISD_E11result_typeE.private_seg_size, 0
	.set _ZN12_GLOBAL__N_141elementwise_kernel_with_index_grid_strideIiZZZN2at6native17logspace_cuda_outERKN3c106ScalarES6_ldRNS1_6TensorEENKUlvE0_clEvENKUlvE3_clEvEUllE_EEvT_T0_PN15function_traitsISD_E11result_typeE.uses_vcc, 1
	.set _ZN12_GLOBAL__N_141elementwise_kernel_with_index_grid_strideIiZZZN2at6native17logspace_cuda_outERKN3c106ScalarES6_ldRNS1_6TensorEENKUlvE0_clEvENKUlvE3_clEvEUllE_EEvT_T0_PN15function_traitsISD_E11result_typeE.uses_flat_scratch, 0
	.set _ZN12_GLOBAL__N_141elementwise_kernel_with_index_grid_strideIiZZZN2at6native17logspace_cuda_outERKN3c106ScalarES6_ldRNS1_6TensorEENKUlvE0_clEvENKUlvE3_clEvEUllE_EEvT_T0_PN15function_traitsISD_E11result_typeE.has_dyn_sized_stack, 0
	.set _ZN12_GLOBAL__N_141elementwise_kernel_with_index_grid_strideIiZZZN2at6native17logspace_cuda_outERKN3c106ScalarES6_ldRNS1_6TensorEENKUlvE0_clEvENKUlvE3_clEvEUllE_EEvT_T0_PN15function_traitsISD_E11result_typeE.has_recursion, 0
	.set _ZN12_GLOBAL__N_141elementwise_kernel_with_index_grid_strideIiZZZN2at6native17logspace_cuda_outERKN3c106ScalarES6_ldRNS1_6TensorEENKUlvE0_clEvENKUlvE3_clEvEUllE_EEvT_T0_PN15function_traitsISD_E11result_typeE.has_indirect_call, 0
	.section	.AMDGPU.csdata,"",@progbits
; Kernel info:
; codeLenInByte = 1444
; TotalNumSgprs: 34
; NumVgprs: 28
; NumAgprs: 0
; TotalNumVgprs: 28
; ScratchSize: 0
; MemoryBound: 0
; FloatMode: 240
; IeeeMode: 1
; LDSByteSize: 0 bytes/workgroup (compile time only)
; SGPRBlocks: 4
; VGPRBlocks: 3
; NumSGPRsForWavesPerEU: 34
; NumVGPRsForWavesPerEU: 28
; AccumOffset: 28
; Occupancy: 8
; WaveLimiterHint : 0
; COMPUTE_PGM_RSRC2:SCRATCH_EN: 0
; COMPUTE_PGM_RSRC2:USER_SGPR: 2
; COMPUTE_PGM_RSRC2:TRAP_HANDLER: 0
; COMPUTE_PGM_RSRC2:TGID_X_EN: 1
; COMPUTE_PGM_RSRC2:TGID_Y_EN: 0
; COMPUTE_PGM_RSRC2:TGID_Z_EN: 0
; COMPUTE_PGM_RSRC2:TIDIG_COMP_CNT: 0
; COMPUTE_PGM_RSRC3_GFX90A:ACCUM_OFFSET: 6
; COMPUTE_PGM_RSRC3_GFX90A:TG_SPLIT: 0
	.section	.text._ZN12_GLOBAL__N_141elementwise_kernel_with_index_grid_strideIlZZZN2at6native17logspace_cuda_outERKN3c106ScalarES6_ldRNS1_6TensorEENKUlvE0_clEvENKUlvE3_clEvEUllE_EEvT_T0_PN15function_traitsISD_E11result_typeE,"axG",@progbits,_ZN12_GLOBAL__N_141elementwise_kernel_with_index_grid_strideIlZZZN2at6native17logspace_cuda_outERKN3c106ScalarES6_ldRNS1_6TensorEENKUlvE0_clEvENKUlvE3_clEvEUllE_EEvT_T0_PN15function_traitsISD_E11result_typeE,comdat
	.globl	_ZN12_GLOBAL__N_141elementwise_kernel_with_index_grid_strideIlZZZN2at6native17logspace_cuda_outERKN3c106ScalarES6_ldRNS1_6TensorEENKUlvE0_clEvENKUlvE3_clEvEUllE_EEvT_T0_PN15function_traitsISD_E11result_typeE ; -- Begin function _ZN12_GLOBAL__N_141elementwise_kernel_with_index_grid_strideIlZZZN2at6native17logspace_cuda_outERKN3c106ScalarES6_ldRNS1_6TensorEENKUlvE0_clEvENKUlvE3_clEvEUllE_EEvT_T0_PN15function_traitsISD_E11result_typeE
	.p2align	8
	.type	_ZN12_GLOBAL__N_141elementwise_kernel_with_index_grid_strideIlZZZN2at6native17logspace_cuda_outERKN3c106ScalarES6_ldRNS1_6TensorEENKUlvE0_clEvENKUlvE3_clEvEUllE_EEvT_T0_PN15function_traitsISD_E11result_typeE,@function
_ZN12_GLOBAL__N_141elementwise_kernel_with_index_grid_strideIlZZZN2at6native17logspace_cuda_outERKN3c106ScalarES6_ldRNS1_6TensorEENKUlvE0_clEvENKUlvE3_clEvEUllE_EEvT_T0_PN15function_traitsISD_E11result_typeE: ; @_ZN12_GLOBAL__N_141elementwise_kernel_with_index_grid_strideIlZZZN2at6native17logspace_cuda_outERKN3c106ScalarES6_ldRNS1_6TensorEENKUlvE0_clEvENKUlvE3_clEvEUllE_EEvT_T0_PN15function_traitsISD_E11result_typeE
; %bb.0:
	s_load_dword s3, s[0:1], 0x3c
	s_load_dwordx2 s[12:13], s[0:1], 0x0
	s_add_u32 s14, s0, 48
	s_addc_u32 s15, s1, 0
	v_mov_b32_e32 v1, 0
	s_waitcnt lgkmcnt(0)
	s_and_b32 s3, s3, 0xffff
	v_mov_b32_e32 v2, s2
	v_mad_u64_u32 v[0:1], s[4:5], s3, v2, v[0:1]
	v_cmp_gt_i64_e32 vcc, s[12:13], v[0:1]
	s_and_saveexec_b64 s[4:5], vcc
	s_cbranch_execz .LBB43_7
; %bb.1:
	s_load_dwordx4 s[4:7], s[0:1], 0x20
	s_load_dwordx4 s[8:11], s[0:1], 0x8
	s_load_dword s2, s[14:15], 0x0
	s_load_dword s18, s[0:1], 0x18
	v_not_b32_e32 v3, v1
	s_waitcnt lgkmcnt(0)
	v_mov_b32_e32 v4, s6
	v_cvt_f32_f16_e32 v6, s9
	v_mov_b32_e32 v5, s7
	s_mul_hi_u32 s7, s3, s2
	s_mul_i32 s6, s3, s2
	v_not_b32_e32 v2, v0
                                        ; implicit-def: $vgpr8
	s_lshr_b32 s19, s8, 16
	v_cmp_eq_f16_e64 s[14:15], s9, 1.0
	v_lshl_add_u64 v[2:3], v[2:3], 0, s[10:11]
	v_lshl_add_u64 v[4:5], v[0:1], 1, v[4:5]
	s_lshl_b64 s[10:11], s[6:7], 1
	s_mov_b64 s[16:17], 0
	s_mov_b32 s9, 0x3f2aaaab
	v_mov_b32_e32 v7, 0x3e91f4c4
	s_mov_b32 s20, 0x3f317218
	s_movk_i32 s21, 0x204
	s_mov_b32 s22, 0x7f800000
	s_mov_b32 s23, 0x42b17218
	v_mov_b32_e32 v8, 0x37000000
	s_mov_b32 s24, 0x3fb8aa3b
	s_mov_b32 s25, 0xc2ce8ed0
	v_mov_b32_e32 v9, 0x7f800000
	s_brev_b32 s26, -2
	v_mov_b32_e32 v10, 0x7fc00000
	v_mov_b32_e32 v11, s7
	s_branch .LBB43_3
.LBB43_2:                               ;   in Loop: Header=BB43_3 Depth=1
	s_or_b64 exec, exec, s[0:1]
	v_cvt_f32_f16_e32 v12, v12
	v_lshl_add_u64 v[0:1], v[0:1], 0, s[6:7]
	v_cndmask_b32_e64 v26, v12, 1.0, s[14:15]
	v_cmp_neq_f32_e32 vcc, 0, v26
	v_cmp_neq_f32_e64 s[2:3], v26, |v26|
	s_nop 0
	v_cndmask_b32_e32 v27, 1.0, v6, vcc
	v_frexp_mant_f32_e64 v12, |v27|
	v_cmp_gt_f32_e32 vcc, s9, v12
	v_cmp_lt_f32_e64 s[28:29], |v27|, 1.0
	s_xor_b64 s[2:3], s[2:3], s[28:29]
	v_cndmask_b32_e64 v13, 1.0, 2.0, vcc
	v_mul_f32_e32 v12, v12, v13
	v_add_f32_e32 v15, 1.0, v12
	v_rcp_f32_e32 v18, v15
	v_add_f32_e32 v13, -1.0, v12
	v_add_f32_e32 v14, -1.0, v15
	v_sub_f32_e32 v12, v12, v14
	v_mul_f32_e32 v19, v13, v18
	v_mul_f32_e32 v14, v15, v19
	v_fma_f32 v16, v19, v15, -v14
	v_fmac_f32_e32 v16, v19, v12
	v_add_f32_e32 v12, v14, v16
	v_sub_f32_e32 v15, v13, v12
	v_mov_b32_e32 v17, v12
	v_pk_add_f32 v[12:13], v[12:13], v[14:15] neg_lo:[0,1] neg_hi:[0,1]
	v_cmp_class_f32_e64 s[28:29], v27, s21
	v_pk_add_f32 v[12:13], v[12:13], v[16:17] neg_lo:[0,1] neg_hi:[0,1]
	s_nop 0
	v_add_f32_e32 v12, v12, v13
	v_add_f32_e32 v12, v15, v12
	v_mul_f32_e32 v13, v18, v12
	v_add_f32_e32 v12, v19, v13
	v_sub_f32_e32 v14, v12, v19
	v_sub_f32_e32 v22, v13, v14
	v_mul_f32_e32 v13, v12, v12
	v_fma_f32 v15, v12, v12, -v13
	v_add_f32_e32 v14, v22, v22
	v_fmac_f32_e32 v15, v12, v14
	v_add_f32_e32 v14, v13, v15
	v_fmamk_f32 v16, v14, 0x3e76c4e1, v7
	v_fmaak_f32 v16, v14, v16, 0x3ecccdef
	v_sub_f32_e32 v13, v14, v13
	v_sub_f32_e32 v23, v15, v13
	v_mul_f32_e32 v13, v14, v16
	v_fma_f32 v15, v14, v16, -v13
	v_fmac_f32_e32 v15, v23, v16
	v_add_f32_e32 v16, v13, v15
	v_add_f32_e32 v17, 0x3f2aaaaa, v16
	v_sub_f32_e32 v13, v16, v13
	v_sub_f32_e32 v13, v15, v13
	v_add_f32_e32 v15, 0xbf2aaaaa, v17
	v_add_f32_e32 v13, 0x31739010, v13
	v_sub_f32_e32 v15, v16, v15
	v_pk_mul_f32 v[18:19], v[12:13], v[14:15]
	v_pk_add_f32 v[20:21], v[12:13], v[14:15]
	v_fma_f32 v16, v14, v12, -v18
	v_fmac_f32_e32 v16, v14, v22
	v_mov_b32_e32 v19, v21
	v_fmac_f32_e32 v16, v23, v12
	v_pk_add_f32 v[14:15], v[18:19], v[16:17]
	v_ldexp_f32 v24, v22, 1
	v_sub_f32_e32 v13, v14, v18
	v_sub_f32_e32 v13, v16, v13
	;; [unrolled: 1-line block ×3, first 2 shown]
	v_add_f32_e32 v20, v21, v16
	v_pk_mul_f32 v[16:17], v[14:15], v[14:15] op_sel:[0,1] op_sel_hi:[1,0]
	v_cvt_f64_f32_e64 v[18:19], |v27|
	v_frexp_exp_i32_f64_e32 v17, v[18:19]
	v_subbrev_co_u32_e32 v17, vcc, 0, v17, vcc
	v_cvt_f32_i32_e32 v17, v17
	v_fma_f32 v18, v14, v15, -v16
	v_fmac_f32_e32 v18, v14, v20
	v_fmac_f32_e32 v18, v13, v15
	v_mul_f32_e32 v14, 0x3f317218, v17
	v_fma_f32 v20, v17, s20, -v14
	v_fmac_f32_e32 v20, 0xb102e308, v17
	v_ldexp_f32 v21, v12, 1
	v_add_f32_e32 v15, v16, v18
	v_pk_add_f32 v[12:13], v[14:15], v[20:21]
	v_mov_b32_e32 v22, v15
	v_mov_b32_e32 v23, v13
	;; [unrolled: 1-line block ×3, first 2 shown]
	v_pk_add_f32 v[16:17], v[22:23], v[16:17] neg_lo:[0,1] neg_hi:[0,1]
	v_mov_b32_e32 v19, v15
	v_pk_add_f32 v[16:17], v[18:19], v[16:17] neg_lo:[0,1] neg_hi:[0,1]
	v_mov_b32_e32 v21, v12
	v_add_f32_e32 v15, v24, v16
	v_add_f32_e32 v15, v15, v17
	v_pk_add_f32 v[16:17], v[12:13], v[14:15] neg_lo:[0,1] neg_hi:[0,1]
	v_pk_add_f32 v[18:19], v[12:13], v[14:15]
	v_mov_b32_e32 v14, v15
	v_mov_b32_e32 v17, v19
	v_pk_add_f32 v[22:23], v[20:21], v[16:17] neg_lo:[0,1] neg_hi:[0,1]
	v_pk_add_f32 v[16:17], v[20:21], v[16:17]
	v_mov_b32_e32 v15, v12
	v_pk_add_f32 v[20:21], v[16:17], v[12:13] op_sel:[1,0] op_sel_hi:[0,1] neg_lo:[0,1] neg_hi:[0,1]
	v_pk_add_f32 v[24:25], v[18:19], v[20:21] op_sel_hi:[1,0] neg_lo:[0,1] neg_hi:[0,1]
	v_mov_b32_e32 v18, v19
	v_mov_b32_e32 v19, v17
	v_pk_mov_b32 v[20:21], v[12:13], v[20:21] op_sel:[1,0]
	v_mov_b32_e32 v24, v22
	v_pk_add_f32 v[18:19], v[18:19], v[20:21] neg_lo:[0,1] neg_hi:[0,1]
	v_mov_b32_e32 v23, v17
	v_pk_add_f32 v[12:13], v[14:15], v[18:19] neg_lo:[0,1] neg_hi:[0,1]
	s_nop 0
	v_pk_add_f32 v[14:15], v[24:25], v[12:13]
	s_nop 0
	v_pk_add_f32 v[18:19], v[14:15], v[14:15] op_sel:[0,1] op_sel_hi:[1,0]
	s_nop 0
	v_pk_add_f32 v[16:17], v[16:17], v[18:19] op_sel:[1,0] op_sel_hi:[0,1]
	v_mov_b32_e32 v15, v16
	v_pk_add_f32 v[20:21], v[14:15], v[22:23] neg_lo:[0,1] neg_hi:[0,1]
	v_mov_b32_e32 v13, v18
	v_sub_f32_e32 v14, v14, v20
	v_pk_add_f32 v[12:13], v[12:13], v[20:21] neg_lo:[0,1] neg_hi:[0,1]
	v_sub_f32_e32 v14, v22, v14
	v_add_f32_e32 v12, v12, v14
	v_add_f32_e32 v12, v12, v13
	;; [unrolled: 1-line block ×3, first 2 shown]
	v_sub_f32_e32 v14, v13, v16
	v_sub_f32_e32 v12, v12, v14
	v_mul_f32_e32 v14, v26, v13
	v_fma_f32 v13, v26, v13, -v14
	v_fmac_f32_e32 v13, v26, v12
	v_add_f32_e32 v12, v14, v13
	v_cmp_class_f32_e64 vcc, v14, s21
	v_sub_f32_e32 v15, v12, v14
	v_sub_f32_e32 v13, v13, v15
	v_cndmask_b32_e32 v12, v12, v14, vcc
	v_cmp_eq_f32_e32 vcc, s23, v12
	s_nop 1
	v_cndmask_b32_e32 v14, 0, v8, vcc
	v_sub_f32_e32 v15, v12, v14
	v_mul_f32_e32 v16, 0x3fb8aa3b, v15
	v_fma_f32 v17, v15, s24, -v16
	v_rndne_f32_e32 v18, v16
	v_fmac_f32_e32 v17, 0x32a5705f, v15
	v_sub_f32_e32 v16, v16, v18
	v_add_f32_e32 v16, v16, v17
	v_exp_f32_e32 v16, v16
	v_cvt_i32_f32_e32 v17, v18
	v_cmp_neq_f32_e64 vcc, |v12|, s22
	s_nop 1
	v_cndmask_b32_e32 v12, 0, v13, vcc
	v_ldexp_f32 v13, v16, v17
	v_cmp_ngt_f32_e32 vcc, s25, v15
	v_add_f32_e32 v12, v14, v12
	s_nop 0
	v_cndmask_b32_e32 v13, 0, v13, vcc
	v_cmp_nlt_f32_e32 vcc, s23, v15
	s_nop 1
	v_cndmask_b32_e32 v13, v9, v13, vcc
	v_fma_f32 v12, v13, v12, v13
	v_cmp_class_f32_e64 vcc, v13, s21
	s_nop 1
	v_cndmask_b32_e32 v12, v12, v13, vcc
	v_trunc_f32_e32 v13, v26
	v_cmp_eq_f32_e32 vcc, v13, v26
	v_mul_f32_e32 v13, 0.5, v26
	v_trunc_f32_e32 v14, v13
	v_cmp_neq_f32_e64 s[0:1], v14, v13
	s_and_b64 s[0:1], vcc, s[0:1]
	s_nop 0
	v_cndmask_b32_e64 v13, 1.0, v27, s[0:1]
	v_bfi_b32 v12, s26, v12, v13
	v_cndmask_b32_e32 v13, v10, v12, vcc
	v_cmp_gt_f32_e32 vcc, 0, v27
	v_cndmask_b32_e64 v14, 0, v27, s[0:1]
	s_nop 0
	v_cndmask_b32_e32 v12, v12, v13, vcc
	v_cndmask_b32_e64 v13, v9, 0, s[2:3]
	v_cmp_neq_f32_e64 vcc, |v27|, 1.0
	v_cmp_gt_f32_e64 s[2:3], 0, v26
	s_nop 0
	v_cndmask_b32_e32 v13, 1.0, v13, vcc
	v_cmp_class_f32_e64 vcc, v26, s21
	s_nop 1
	v_cndmask_b32_e32 v12, v12, v13, vcc
	v_cmp_eq_f32_e32 vcc, 0, v27
	s_xor_b64 s[2:3], s[2:3], vcc
	v_cndmask_b32_e64 v13, v9, 0, s[2:3]
	v_bfi_b32 v13, s26, v13, v14
	s_or_b64 vcc, vcc, s[28:29]
	v_cndmask_b32_e32 v12, v12, v13, vcc
	v_cmp_o_f32_e32 vcc, v27, v26
	s_nop 1
	v_cndmask_b32_e32 v12, v10, v12, vcc
	v_cvt_f16_f32_e32 v12, v12
	v_subrev_co_u32_e32 v2, vcc, s6, v2
	global_store_short v[4:5], v12, off
	s_nop 0
	v_subb_co_u32_e32 v3, vcc, v3, v11, vcc
	v_cmp_le_i64_e32 vcc, s[12:13], v[0:1]
	s_or_b64 s[16:17], vcc, s[16:17]
	v_lshl_add_u64 v[4:5], v[4:5], 0, s[10:11]
	s_andn2_b64 exec, exec, s[16:17]
	s_cbranch_execz .LBB43_7
.LBB43_3:                               ; =>This Inner Loop Header: Depth=1
	v_cmp_le_i64_e32 vcc, s[4:5], v[0:1]
                                        ; implicit-def: $vgpr12
	s_and_saveexec_b64 s[0:1], vcc
	s_xor_b64 s[0:1], exec, s[0:1]
	s_cbranch_execz .LBB43_5
; %bb.4:                                ;   in Loop: Header=BB43_3 Depth=1
	v_xor_b32_e32 v13, v2, v3
	v_ffbh_i32_e32 v12, v3
	v_ashrrev_i32_e32 v13, 31, v13
	v_add_u32_e32 v12, -1, v12
	v_add_u32_e32 v13, 32, v13
	v_min_u32_e32 v14, v12, v13
	v_lshlrev_b64 v[12:13], v14, v[2:3]
	v_min_u32_e32 v12, 1, v12
	v_or_b32_e32 v12, v13, v12
	v_cvt_f32_i32_e32 v12, v12
	v_sub_u32_e32 v13, 32, v14
	v_ldexp_f32 v12, v12, v13
	v_cvt_f16_f32_e32 v12, v12
	v_mov_b32_e32 v13, s19
	v_fma_f16 v12, -s18, v12, v13
.LBB43_5:                               ;   in Loop: Header=BB43_3 Depth=1
	s_andn2_saveexec_b64 s[0:1], s[0:1]
	s_cbranch_execz .LBB43_2
; %bb.6:                                ;   in Loop: Header=BB43_3 Depth=1
	v_ffbh_u32_e32 v12, v1
	v_min_u32_e32 v14, 32, v12
	v_lshlrev_b64 v[12:13], v14, v[0:1]
	v_min_u32_e32 v12, 1, v12
	v_or_b32_e32 v12, v13, v12
	v_cvt_f32_u32_e32 v12, v12
	v_sub_u32_e32 v13, 32, v14
	v_ldexp_f32 v12, v12, v13
	v_cvt_f16_f32_e32 v12, v12
	v_mov_b32_e32 v13, s8
	v_fma_f16 v12, s18, v12, v13
	s_branch .LBB43_2
.LBB43_7:
	s_endpgm
	.section	.rodata,"a",@progbits
	.p2align	6, 0x0
	.amdhsa_kernel _ZN12_GLOBAL__N_141elementwise_kernel_with_index_grid_strideIlZZZN2at6native17logspace_cuda_outERKN3c106ScalarES6_ldRNS1_6TensorEENKUlvE0_clEvENKUlvE3_clEvEUllE_EEvT_T0_PN15function_traitsISD_E11result_typeE
		.amdhsa_group_segment_fixed_size 0
		.amdhsa_private_segment_fixed_size 0
		.amdhsa_kernarg_size 304
		.amdhsa_user_sgpr_count 2
		.amdhsa_user_sgpr_dispatch_ptr 0
		.amdhsa_user_sgpr_queue_ptr 0
		.amdhsa_user_sgpr_kernarg_segment_ptr 1
		.amdhsa_user_sgpr_dispatch_id 0
		.amdhsa_user_sgpr_kernarg_preload_length 0
		.amdhsa_user_sgpr_kernarg_preload_offset 0
		.amdhsa_user_sgpr_private_segment_size 0
		.amdhsa_uses_dynamic_stack 0
		.amdhsa_enable_private_segment 0
		.amdhsa_system_sgpr_workgroup_id_x 1
		.amdhsa_system_sgpr_workgroup_id_y 0
		.amdhsa_system_sgpr_workgroup_id_z 0
		.amdhsa_system_sgpr_workgroup_info 0
		.amdhsa_system_vgpr_workitem_id 0
		.amdhsa_next_free_vgpr 28
		.amdhsa_next_free_sgpr 30
		.amdhsa_accum_offset 28
		.amdhsa_reserve_vcc 1
		.amdhsa_float_round_mode_32 0
		.amdhsa_float_round_mode_16_64 0
		.amdhsa_float_denorm_mode_32 3
		.amdhsa_float_denorm_mode_16_64 3
		.amdhsa_dx10_clamp 1
		.amdhsa_ieee_mode 1
		.amdhsa_fp16_overflow 0
		.amdhsa_tg_split 0
		.amdhsa_exception_fp_ieee_invalid_op 0
		.amdhsa_exception_fp_denorm_src 0
		.amdhsa_exception_fp_ieee_div_zero 0
		.amdhsa_exception_fp_ieee_overflow 0
		.amdhsa_exception_fp_ieee_underflow 0
		.amdhsa_exception_fp_ieee_inexact 0
		.amdhsa_exception_int_div_zero 0
	.end_amdhsa_kernel
	.section	.text._ZN12_GLOBAL__N_141elementwise_kernel_with_index_grid_strideIlZZZN2at6native17logspace_cuda_outERKN3c106ScalarES6_ldRNS1_6TensorEENKUlvE0_clEvENKUlvE3_clEvEUllE_EEvT_T0_PN15function_traitsISD_E11result_typeE,"axG",@progbits,_ZN12_GLOBAL__N_141elementwise_kernel_with_index_grid_strideIlZZZN2at6native17logspace_cuda_outERKN3c106ScalarES6_ldRNS1_6TensorEENKUlvE0_clEvENKUlvE3_clEvEUllE_EEvT_T0_PN15function_traitsISD_E11result_typeE,comdat
.Lfunc_end43:
	.size	_ZN12_GLOBAL__N_141elementwise_kernel_with_index_grid_strideIlZZZN2at6native17logspace_cuda_outERKN3c106ScalarES6_ldRNS1_6TensorEENKUlvE0_clEvENKUlvE3_clEvEUllE_EEvT_T0_PN15function_traitsISD_E11result_typeE, .Lfunc_end43-_ZN12_GLOBAL__N_141elementwise_kernel_with_index_grid_strideIlZZZN2at6native17logspace_cuda_outERKN3c106ScalarES6_ldRNS1_6TensorEENKUlvE0_clEvENKUlvE3_clEvEUllE_EEvT_T0_PN15function_traitsISD_E11result_typeE
                                        ; -- End function
	.set _ZN12_GLOBAL__N_141elementwise_kernel_with_index_grid_strideIlZZZN2at6native17logspace_cuda_outERKN3c106ScalarES6_ldRNS1_6TensorEENKUlvE0_clEvENKUlvE3_clEvEUllE_EEvT_T0_PN15function_traitsISD_E11result_typeE.num_vgpr, 28
	.set _ZN12_GLOBAL__N_141elementwise_kernel_with_index_grid_strideIlZZZN2at6native17logspace_cuda_outERKN3c106ScalarES6_ldRNS1_6TensorEENKUlvE0_clEvENKUlvE3_clEvEUllE_EEvT_T0_PN15function_traitsISD_E11result_typeE.num_agpr, 0
	.set _ZN12_GLOBAL__N_141elementwise_kernel_with_index_grid_strideIlZZZN2at6native17logspace_cuda_outERKN3c106ScalarES6_ldRNS1_6TensorEENKUlvE0_clEvENKUlvE3_clEvEUllE_EEvT_T0_PN15function_traitsISD_E11result_typeE.numbered_sgpr, 30
	.set _ZN12_GLOBAL__N_141elementwise_kernel_with_index_grid_strideIlZZZN2at6native17logspace_cuda_outERKN3c106ScalarES6_ldRNS1_6TensorEENKUlvE0_clEvENKUlvE3_clEvEUllE_EEvT_T0_PN15function_traitsISD_E11result_typeE.num_named_barrier, 0
	.set _ZN12_GLOBAL__N_141elementwise_kernel_with_index_grid_strideIlZZZN2at6native17logspace_cuda_outERKN3c106ScalarES6_ldRNS1_6TensorEENKUlvE0_clEvENKUlvE3_clEvEUllE_EEvT_T0_PN15function_traitsISD_E11result_typeE.private_seg_size, 0
	.set _ZN12_GLOBAL__N_141elementwise_kernel_with_index_grid_strideIlZZZN2at6native17logspace_cuda_outERKN3c106ScalarES6_ldRNS1_6TensorEENKUlvE0_clEvENKUlvE3_clEvEUllE_EEvT_T0_PN15function_traitsISD_E11result_typeE.uses_vcc, 1
	.set _ZN12_GLOBAL__N_141elementwise_kernel_with_index_grid_strideIlZZZN2at6native17logspace_cuda_outERKN3c106ScalarES6_ldRNS1_6TensorEENKUlvE0_clEvENKUlvE3_clEvEUllE_EEvT_T0_PN15function_traitsISD_E11result_typeE.uses_flat_scratch, 0
	.set _ZN12_GLOBAL__N_141elementwise_kernel_with_index_grid_strideIlZZZN2at6native17logspace_cuda_outERKN3c106ScalarES6_ldRNS1_6TensorEENKUlvE0_clEvENKUlvE3_clEvEUllE_EEvT_T0_PN15function_traitsISD_E11result_typeE.has_dyn_sized_stack, 0
	.set _ZN12_GLOBAL__N_141elementwise_kernel_with_index_grid_strideIlZZZN2at6native17logspace_cuda_outERKN3c106ScalarES6_ldRNS1_6TensorEENKUlvE0_clEvENKUlvE3_clEvEUllE_EEvT_T0_PN15function_traitsISD_E11result_typeE.has_recursion, 0
	.set _ZN12_GLOBAL__N_141elementwise_kernel_with_index_grid_strideIlZZZN2at6native17logspace_cuda_outERKN3c106ScalarES6_ldRNS1_6TensorEENKUlvE0_clEvENKUlvE3_clEvEUllE_EEvT_T0_PN15function_traitsISD_E11result_typeE.has_indirect_call, 0
	.section	.AMDGPU.csdata,"",@progbits
; Kernel info:
; codeLenInByte = 1484
; TotalNumSgprs: 36
; NumVgprs: 28
; NumAgprs: 0
; TotalNumVgprs: 28
; ScratchSize: 0
; MemoryBound: 0
; FloatMode: 240
; IeeeMode: 1
; LDSByteSize: 0 bytes/workgroup (compile time only)
; SGPRBlocks: 4
; VGPRBlocks: 3
; NumSGPRsForWavesPerEU: 36
; NumVGPRsForWavesPerEU: 28
; AccumOffset: 28
; Occupancy: 8
; WaveLimiterHint : 0
; COMPUTE_PGM_RSRC2:SCRATCH_EN: 0
; COMPUTE_PGM_RSRC2:USER_SGPR: 2
; COMPUTE_PGM_RSRC2:TRAP_HANDLER: 0
; COMPUTE_PGM_RSRC2:TGID_X_EN: 1
; COMPUTE_PGM_RSRC2:TGID_Y_EN: 0
; COMPUTE_PGM_RSRC2:TGID_Z_EN: 0
; COMPUTE_PGM_RSRC2:TIDIG_COMP_CNT: 0
; COMPUTE_PGM_RSRC3_GFX90A:ACCUM_OFFSET: 6
; COMPUTE_PGM_RSRC3_GFX90A:TG_SPLIT: 0
	.section	.text._ZN12_GLOBAL__N_141elementwise_kernel_with_index_grid_strideIiZZZN2at6native17logspace_cuda_outERKN3c106ScalarES6_ldRNS1_6TensorEENKUlvE0_clEvENKUlvE4_clEvEUllE_EEvT_T0_PN15function_traitsISD_E11result_typeE,"axG",@progbits,_ZN12_GLOBAL__N_141elementwise_kernel_with_index_grid_strideIiZZZN2at6native17logspace_cuda_outERKN3c106ScalarES6_ldRNS1_6TensorEENKUlvE0_clEvENKUlvE4_clEvEUllE_EEvT_T0_PN15function_traitsISD_E11result_typeE,comdat
	.globl	_ZN12_GLOBAL__N_141elementwise_kernel_with_index_grid_strideIiZZZN2at6native17logspace_cuda_outERKN3c106ScalarES6_ldRNS1_6TensorEENKUlvE0_clEvENKUlvE4_clEvEUllE_EEvT_T0_PN15function_traitsISD_E11result_typeE ; -- Begin function _ZN12_GLOBAL__N_141elementwise_kernel_with_index_grid_strideIiZZZN2at6native17logspace_cuda_outERKN3c106ScalarES6_ldRNS1_6TensorEENKUlvE0_clEvENKUlvE4_clEvEUllE_EEvT_T0_PN15function_traitsISD_E11result_typeE
	.p2align	8
	.type	_ZN12_GLOBAL__N_141elementwise_kernel_with_index_grid_strideIiZZZN2at6native17logspace_cuda_outERKN3c106ScalarES6_ldRNS1_6TensorEENKUlvE0_clEvENKUlvE4_clEvEUllE_EEvT_T0_PN15function_traitsISD_E11result_typeE,@function
_ZN12_GLOBAL__N_141elementwise_kernel_with_index_grid_strideIiZZZN2at6native17logspace_cuda_outERKN3c106ScalarES6_ldRNS1_6TensorEENKUlvE0_clEvENKUlvE4_clEvEUllE_EEvT_T0_PN15function_traitsISD_E11result_typeE: ; @_ZN12_GLOBAL__N_141elementwise_kernel_with_index_grid_strideIiZZZN2at6native17logspace_cuda_outERKN3c106ScalarES6_ldRNS1_6TensorEENKUlvE0_clEvENKUlvE4_clEvEUllE_EEvT_T0_PN15function_traitsISD_E11result_typeE
; %bb.0:
	s_load_dword s3, s[0:1], 0x3c
	s_load_dword s14, s[0:1], 0x0
	s_add_u32 s8, s0, 48
	s_addc_u32 s9, s1, 0
	s_waitcnt lgkmcnt(0)
	s_and_b32 s3, s3, 0xffff
	s_mul_i32 s2, s2, s3
	v_add_u32_e32 v0, s2, v0
	v_cmp_gt_i32_e32 vcc, s14, v0
	s_and_saveexec_b64 s[4:5], vcc
	s_cbranch_execz .LBB44_7
; %bb.1:
	s_load_dwordx4 s[4:7], s[0:1], 0x20
	s_load_dword s2, s[8:9], 0x0
	s_load_dword s10, s[0:1], 0x18
	s_load_dwordx4 s[20:23], s[0:1], 0x8
	v_ashrrev_i32_e32 v1, 31, v0
	s_waitcnt lgkmcnt(0)
	v_mov_b32_e32 v4, s6
	s_mul_i32 s6, s2, s3
	v_mov_b32_e32 v5, s7
	s_lshl_b32 s0, s21, 16
	v_not_b32_e32 v3, v1
	v_not_b32_e32 v2, v0
	s_ashr_i32 s7, s6, 31
	s_mov_b32 s16, 0x31739010
	s_lshl_b32 s18, s10, 16
	s_pack_lh_b32_b16 s19, 0, s20
	s_lshl_b32 s20, s20, 16
	v_cmp_eq_f32_e64 s[8:9], s0, 1.0
	v_lshl_add_u64 v[2:3], v[2:3], 0, s[22:23]
	v_lshl_add_u64 v[4:5], v[0:1], 1, v[4:5]
	s_lshl_b64 s[10:11], s[6:7], 1
	s_mov_b64 s[12:13], 0
	s_movk_i32 s21, 0x7fff
	v_mov_b32_e32 v8, 0x7fc00000
	v_mov_b32_e32 v9, s0
	s_mov_b32 s22, 0x3f2aaaab
	v_mov_b32_e32 v10, 0x3e91f4c4
	s_mov_b32 s15, 0x3f2aaaaa
	s_mov_b32 s17, 0xbf2aaaaa
	;; [unrolled: 1-line block ×3, first 2 shown]
	s_movk_i32 s24, 0x204
	s_mov_b32 s25, 0x7f800000
	s_mov_b32 s26, 0x42b17218
	v_mov_b32_e32 v11, 0x37000000
	s_mov_b32 s27, 0x3fb8aa3b
	s_mov_b32 s28, 0xc2ce8ed0
	v_mov_b32_e32 v12, 0x7f800000
	s_brev_b32 s29, -2
	v_mov_b32_e32 v13, 0x7fc0
	v_mov_b32_e32 v14, s7
	;; [unrolled: 1-line block ×3, first 2 shown]
                                        ; implicit-def: $vgpr6
	s_branch .LBB44_3
.LBB44_2:                               ;   in Loop: Header=BB44_3 Depth=1
	s_or_b64 exec, exec, s[0:1]
	v_bfe_u32 v15, v6, 16, 1
	v_add3_u32 v15, v6, v15, s21
	v_and_b32_e32 v15, 0xffff0000, v15
	v_cmp_o_f32_e32 vcc, v6, v6
	v_lshl_add_u64 v[0:1], v[0:1], 0, s[6:7]
	s_nop 0
	v_cndmask_b32_e32 v6, v8, v15, vcc
	v_cndmask_b32_e64 v15, v6, 1.0, s[8:9]
	v_cmp_neq_f32_e32 vcc, 0, v15
	v_cmp_neq_f32_e64 s[2:3], v15, |v15|
	s_nop 0
	v_cndmask_b32_e32 v30, 1.0, v9, vcc
	v_frexp_mant_f32_e64 v6, |v30|
	v_cmp_gt_f32_e32 vcc, s22, v6
	v_cmp_lt_f32_e64 s[30:31], |v30|, 1.0
	s_xor_b64 s[2:3], s[2:3], s[30:31]
	v_cndmask_b32_e64 v16, 1.0, 2.0, vcc
	v_mul_f32_e32 v6, v6, v16
	v_add_f32_e32 v16, 1.0, v6
	v_rcp_f32_e32 v24, v16
	v_add_f32_e32 v17, -1.0, v16
	v_sub_f32_e32 v19, v6, v17
	v_add_f32_e32 v17, -1.0, v6
	v_mul_f32_e32 v6, v17, v24
	v_mul_f32_e32 v18, v16, v6
	v_fma_f32 v20, v6, v16, -v18
	v_fmac_f32_e32 v20, v6, v19
	v_add_f32_e32 v16, v18, v20
	v_sub_f32_e32 v19, v17, v16
	v_pk_add_f32 v[22:23], v[16:17], v[18:19] neg_lo:[0,1] neg_hi:[0,1]
	v_mov_b32_e32 v21, v16
	v_pk_add_f32 v[16:17], v[22:23], v[20:21] neg_lo:[0,1] neg_hi:[0,1]
	v_cmp_class_f32_e64 s[30:31], v30, s24
	v_add_f32_e32 v16, v16, v17
	v_add_f32_e32 v16, v19, v16
	v_mul_f32_e32 v17, v24, v16
	v_add_f32_e32 v16, v6, v17
	v_sub_f32_e32 v6, v16, v6
	v_sub_f32_e32 v26, v17, v6
	v_mul_f32_e32 v6, v16, v16
	v_fma_f32 v17, v16, v16, -v6
	v_add_f32_e32 v18, v26, v26
	v_fmac_f32_e32 v17, v16, v18
	v_add_f32_e32 v18, v6, v17
	v_fmamk_f32 v19, v18, 0x3e76c4e1, v10
	v_fmaak_f32 v19, v18, v19, 0x3ecccdef
	v_sub_f32_e32 v6, v18, v6
	v_sub_f32_e32 v27, v17, v6
	v_mul_f32_e32 v17, v18, v19
	v_fma_f32 v6, v18, v19, -v17
	v_fmac_f32_e32 v6, v27, v19
	v_add_f32_e32 v21, v17, v6
	v_sub_f32_e32 v20, v21, v17
	v_pk_add_f32 v[22:23], v[6:7], v[20:21] neg_lo:[0,1] neg_hi:[0,1]
	v_pk_add_f32 v[24:25], v[20:21], s[14:15]
	s_nop 0
	v_mov_b32_e32 v23, v25
	v_pk_add_f32 v[22:23], v[22:23], s[16:17]
	s_nop 0
	v_sub_f32_e32 v19, v21, v23
	v_mov_b32_e32 v17, v22
	v_pk_mul_f32 v[20:21], v[16:17], v[18:19]
	v_pk_add_f32 v[22:23], v[22:23], v[18:19] op_sel_hi:[0,1]
	v_fma_f32 v24, v18, v16, -v20
	v_fmac_f32_e32 v24, v18, v26
	v_mov_b32_e32 v21, v23
	v_fmac_f32_e32 v24, v27, v16
	v_pk_add_f32 v[18:19], v[20:21], v[24:25]
	s_nop 0
	v_sub_f32_e32 v17, v25, v19
	v_sub_f32_e32 v6, v18, v20
	v_add_f32_e32 v17, v23, v17
	v_pk_mul_f32 v[20:21], v[18:19], v[18:19] op_sel:[0,1] op_sel_hi:[1,0]
	v_cvt_f64_f32_e64 v[22:23], |v30|
	v_frexp_exp_i32_f64_e32 v21, v[22:23]
	v_subbrev_co_u32_e32 v21, vcc, 0, v21, vcc
	v_cvt_f32_i32_e32 v21, v21
	v_fma_f32 v22, v18, v19, -v20
	v_sub_f32_e32 v6, v24, v6
	v_fmac_f32_e32 v22, v18, v17
	v_mul_f32_e32 v18, 0x3f317218, v21
	v_fmac_f32_e32 v22, v6, v19
	v_fma_f32 v24, v21, s23, -v18
	v_fmac_f32_e32 v24, 0xb102e308, v21
	v_ldexp_f32 v25, v16, 1
	v_add_f32_e32 v19, v20, v22
	v_pk_add_f32 v[16:17], v[18:19], v[24:25]
	v_ldexp_f32 v6, v26, 1
	v_mov_b32_e32 v26, v19
	v_mov_b32_e32 v27, v17
	v_mov_b32_e32 v21, v25
	v_pk_add_f32 v[20:21], v[26:27], v[20:21] neg_lo:[0,1] neg_hi:[0,1]
	v_mov_b32_e32 v23, v19
	v_pk_add_f32 v[20:21], v[22:23], v[20:21] neg_lo:[0,1] neg_hi:[0,1]
	v_mov_b32_e32 v25, v16
	v_add_f32_e32 v6, v6, v20
	v_add_f32_e32 v19, v6, v21
	v_pk_add_f32 v[20:21], v[16:17], v[18:19] neg_lo:[0,1] neg_hi:[0,1]
	v_pk_add_f32 v[22:23], v[16:17], v[18:19]
	v_mov_b32_e32 v18, v19
	v_mov_b32_e32 v21, v23
	v_pk_add_f32 v[26:27], v[24:25], v[20:21] neg_lo:[0,1] neg_hi:[0,1]
	v_pk_add_f32 v[20:21], v[24:25], v[20:21]
	v_mov_b32_e32 v19, v16
	v_pk_add_f32 v[24:25], v[20:21], v[16:17] op_sel:[1,0] op_sel_hi:[0,1] neg_lo:[0,1] neg_hi:[0,1]
	v_pk_add_f32 v[28:29], v[22:23], v[24:25] op_sel_hi:[1,0] neg_lo:[0,1] neg_hi:[0,1]
	v_mov_b32_e32 v22, v23
	v_mov_b32_e32 v23, v21
	v_pk_mov_b32 v[24:25], v[16:17], v[24:25] op_sel:[1,0]
	v_mov_b32_e32 v28, v26
	v_pk_add_f32 v[22:23], v[22:23], v[24:25] neg_lo:[0,1] neg_hi:[0,1]
	v_mov_b32_e32 v27, v21
	v_pk_add_f32 v[16:17], v[18:19], v[22:23] neg_lo:[0,1] neg_hi:[0,1]
	s_nop 0
	v_pk_add_f32 v[18:19], v[28:29], v[16:17]
	s_nop 0
	v_pk_add_f32 v[22:23], v[18:19], v[18:19] op_sel:[0,1] op_sel_hi:[1,0]
	s_nop 0
	v_pk_add_f32 v[20:21], v[20:21], v[22:23] op_sel:[1,0] op_sel_hi:[0,1]
	v_mov_b32_e32 v19, v20
	v_pk_add_f32 v[24:25], v[18:19], v[26:27] neg_lo:[0,1] neg_hi:[0,1]
	v_mov_b32_e32 v17, v22
	v_sub_f32_e32 v6, v18, v24
	v_pk_add_f32 v[16:17], v[16:17], v[24:25] neg_lo:[0,1] neg_hi:[0,1]
	v_sub_f32_e32 v6, v26, v6
	v_add_f32_e32 v6, v16, v6
	v_add_f32_e32 v6, v6, v17
	;; [unrolled: 1-line block ×3, first 2 shown]
	v_sub_f32_e32 v17, v16, v20
	v_sub_f32_e32 v6, v6, v17
	v_mul_f32_e32 v17, v15, v16
	v_fma_f32 v16, v15, v16, -v17
	v_fmac_f32_e32 v16, v15, v6
	v_add_f32_e32 v6, v17, v16
	v_cmp_class_f32_e64 vcc, v17, s24
	v_sub_f32_e32 v18, v6, v17
	v_sub_f32_e32 v16, v16, v18
	v_cndmask_b32_e32 v6, v6, v17, vcc
	v_cmp_eq_f32_e32 vcc, s26, v6
	s_nop 1
	v_cndmask_b32_e32 v17, 0, v11, vcc
	v_sub_f32_e32 v18, v6, v17
	v_mul_f32_e32 v19, 0x3fb8aa3b, v18
	v_fma_f32 v20, v18, s27, -v19
	v_rndne_f32_e32 v21, v19
	v_fmac_f32_e32 v20, 0x32a5705f, v18
	v_sub_f32_e32 v19, v19, v21
	v_add_f32_e32 v19, v19, v20
	v_exp_f32_e32 v19, v19
	v_cvt_i32_f32_e32 v20, v21
	v_cmp_neq_f32_e64 vcc, |v6|, s25
	s_nop 1
	v_cndmask_b32_e32 v6, 0, v16, vcc
	v_ldexp_f32 v16, v19, v20
	v_cmp_ngt_f32_e32 vcc, s28, v18
	v_add_f32_e32 v6, v17, v6
	s_nop 0
	v_cndmask_b32_e32 v16, 0, v16, vcc
	v_cmp_nlt_f32_e32 vcc, s26, v18
	s_nop 1
	v_cndmask_b32_e32 v16, v12, v16, vcc
	v_fma_f32 v6, v16, v6, v16
	v_cmp_class_f32_e64 vcc, v16, s24
	s_nop 1
	v_cndmask_b32_e32 v6, v6, v16, vcc
	v_trunc_f32_e32 v16, v15
	v_cmp_eq_f32_e32 vcc, v16, v15
	v_mul_f32_e32 v16, 0.5, v15
	v_trunc_f32_e32 v17, v16
	v_cmp_neq_f32_e64 s[0:1], v17, v16
	s_and_b64 s[0:1], vcc, s[0:1]
	s_nop 0
	v_cndmask_b32_e64 v16, 1.0, v30, s[0:1]
	v_bfi_b32 v6, s29, v6, v16
	v_cndmask_b32_e32 v16, v8, v6, vcc
	v_cmp_gt_f32_e32 vcc, 0, v30
	v_cndmask_b32_e64 v17, 0, v30, s[0:1]
	s_nop 0
	v_cndmask_b32_e32 v6, v6, v16, vcc
	v_cndmask_b32_e64 v16, v12, 0, s[2:3]
	v_cmp_neq_f32_e64 vcc, |v30|, 1.0
	v_cmp_gt_f32_e64 s[2:3], 0, v15
	s_nop 0
	v_cndmask_b32_e32 v16, 1.0, v16, vcc
	v_cmp_class_f32_e64 vcc, v15, s24
	s_nop 1
	v_cndmask_b32_e32 v6, v6, v16, vcc
	v_cmp_eq_f32_e32 vcc, 0, v30
	s_xor_b64 s[2:3], s[2:3], vcc
	v_cndmask_b32_e64 v16, v12, 0, s[2:3]
	v_bfi_b32 v16, s29, v16, v17
	s_or_b64 vcc, vcc, s[30:31]
	v_cndmask_b32_e32 v6, v6, v16, vcc
	v_cmp_o_f32_e32 vcc, v30, v15
	s_nop 1
	v_cndmask_b32_e32 v6, v8, v6, vcc
	v_bfe_u32 v15, v6, 16, 1
	v_add3_u32 v15, v6, v15, s21
	v_lshrrev_b32_e32 v15, 16, v15
	v_cmp_o_f32_e32 vcc, v6, v6
	s_nop 1
	v_cndmask_b32_e32 v6, v13, v15, vcc
	v_subrev_co_u32_e32 v2, vcc, s6, v2
	global_store_short v[4:5], v6, off
	s_nop 0
	v_subb_co_u32_e32 v3, vcc, v3, v14, vcc
	v_cmp_le_i32_e32 vcc, s14, v0
	s_or_b64 s[12:13], vcc, s[12:13]
	v_lshl_add_u64 v[4:5], v[4:5], 0, s[10:11]
	s_andn2_b64 exec, exec, s[12:13]
	s_cbranch_execz .LBB44_7
.LBB44_3:                               ; =>This Inner Loop Header: Depth=1
	v_cmp_le_i64_e32 vcc, s[4:5], v[0:1]
                                        ; implicit-def: $vgpr6
	s_and_saveexec_b64 s[0:1], vcc
	s_xor_b64 s[0:1], exec, s[0:1]
	s_cbranch_execz .LBB44_5
; %bb.4:                                ;   in Loop: Header=BB44_3 Depth=1
	v_xor_b32_e32 v15, v2, v3
	v_ffbh_i32_e32 v6, v3
	v_ashrrev_i32_e32 v15, 31, v15
	v_add_u32_e32 v6, -1, v6
	v_add_u32_e32 v15, 32, v15
	v_min_u32_e32 v6, v6, v15
	v_lshlrev_b64 v[16:17], v6, v[2:3]
	v_min_u32_e32 v15, 1, v16
	v_or_b32_e32 v15, v17, v15
	v_cvt_f32_i32_e32 v15, v15
	v_sub_u32_e32 v6, 32, v6
	v_ldexp_f32 v6, v15, v6
	v_bfe_u32 v15, v6, 16, 1
	v_add3_u32 v6, v6, v15, s21
	v_and_b32_e32 v6, 0xffff0000, v6
	v_mul_f32_e32 v6, s18, v6
	v_bfe_u32 v15, v6, 16, 1
	v_add3_u32 v15, v6, v15, s21
	v_and_b32_e32 v15, 0xffff0000, v15
	v_cmp_o_f32_e32 vcc, v6, v6
	s_nop 1
	v_cndmask_b32_e32 v6, v8, v15, vcc
	v_sub_f32_e32 v6, s19, v6
.LBB44_5:                               ;   in Loop: Header=BB44_3 Depth=1
	s_andn2_saveexec_b64 s[0:1], s[0:1]
	s_cbranch_execz .LBB44_2
; %bb.6:                                ;   in Loop: Header=BB44_3 Depth=1
	v_cvt_f32_i32_e32 v6, v0
	v_bfe_u32 v15, v6, 16, 1
	v_add3_u32 v6, v6, v15, s21
	v_and_b32_e32 v6, 0xffff0000, v6
	v_mul_f32_e32 v6, s18, v6
	v_bfe_u32 v15, v6, 16, 1
	v_add3_u32 v15, v6, v15, s21
	v_and_b32_e32 v15, 0xffff0000, v15
	v_cmp_o_f32_e32 vcc, v6, v6
	s_nop 1
	v_cndmask_b32_e32 v6, v8, v15, vcc
	v_add_f32_e32 v6, s20, v6
	s_branch .LBB44_2
.LBB44_7:
	s_endpgm
	.section	.rodata,"a",@progbits
	.p2align	6, 0x0
	.amdhsa_kernel _ZN12_GLOBAL__N_141elementwise_kernel_with_index_grid_strideIiZZZN2at6native17logspace_cuda_outERKN3c106ScalarES6_ldRNS1_6TensorEENKUlvE0_clEvENKUlvE4_clEvEUllE_EEvT_T0_PN15function_traitsISD_E11result_typeE
		.amdhsa_group_segment_fixed_size 0
		.amdhsa_private_segment_fixed_size 0
		.amdhsa_kernarg_size 304
		.amdhsa_user_sgpr_count 2
		.amdhsa_user_sgpr_dispatch_ptr 0
		.amdhsa_user_sgpr_queue_ptr 0
		.amdhsa_user_sgpr_kernarg_segment_ptr 1
		.amdhsa_user_sgpr_dispatch_id 0
		.amdhsa_user_sgpr_kernarg_preload_length 0
		.amdhsa_user_sgpr_kernarg_preload_offset 0
		.amdhsa_user_sgpr_private_segment_size 0
		.amdhsa_uses_dynamic_stack 0
		.amdhsa_enable_private_segment 0
		.amdhsa_system_sgpr_workgroup_id_x 1
		.amdhsa_system_sgpr_workgroup_id_y 0
		.amdhsa_system_sgpr_workgroup_id_z 0
		.amdhsa_system_sgpr_workgroup_info 0
		.amdhsa_system_vgpr_workitem_id 0
		.amdhsa_next_free_vgpr 31
		.amdhsa_next_free_sgpr 32
		.amdhsa_accum_offset 32
		.amdhsa_reserve_vcc 1
		.amdhsa_float_round_mode_32 0
		.amdhsa_float_round_mode_16_64 0
		.amdhsa_float_denorm_mode_32 3
		.amdhsa_float_denorm_mode_16_64 3
		.amdhsa_dx10_clamp 1
		.amdhsa_ieee_mode 1
		.amdhsa_fp16_overflow 0
		.amdhsa_tg_split 0
		.amdhsa_exception_fp_ieee_invalid_op 0
		.amdhsa_exception_fp_denorm_src 0
		.amdhsa_exception_fp_ieee_div_zero 0
		.amdhsa_exception_fp_ieee_overflow 0
		.amdhsa_exception_fp_ieee_underflow 0
		.amdhsa_exception_fp_ieee_inexact 0
		.amdhsa_exception_int_div_zero 0
	.end_amdhsa_kernel
	.section	.text._ZN12_GLOBAL__N_141elementwise_kernel_with_index_grid_strideIiZZZN2at6native17logspace_cuda_outERKN3c106ScalarES6_ldRNS1_6TensorEENKUlvE0_clEvENKUlvE4_clEvEUllE_EEvT_T0_PN15function_traitsISD_E11result_typeE,"axG",@progbits,_ZN12_GLOBAL__N_141elementwise_kernel_with_index_grid_strideIiZZZN2at6native17logspace_cuda_outERKN3c106ScalarES6_ldRNS1_6TensorEENKUlvE0_clEvENKUlvE4_clEvEUllE_EEvT_T0_PN15function_traitsISD_E11result_typeE,comdat
.Lfunc_end44:
	.size	_ZN12_GLOBAL__N_141elementwise_kernel_with_index_grid_strideIiZZZN2at6native17logspace_cuda_outERKN3c106ScalarES6_ldRNS1_6TensorEENKUlvE0_clEvENKUlvE4_clEvEUllE_EEvT_T0_PN15function_traitsISD_E11result_typeE, .Lfunc_end44-_ZN12_GLOBAL__N_141elementwise_kernel_with_index_grid_strideIiZZZN2at6native17logspace_cuda_outERKN3c106ScalarES6_ldRNS1_6TensorEENKUlvE0_clEvENKUlvE4_clEvEUllE_EEvT_T0_PN15function_traitsISD_E11result_typeE
                                        ; -- End function
	.set _ZN12_GLOBAL__N_141elementwise_kernel_with_index_grid_strideIiZZZN2at6native17logspace_cuda_outERKN3c106ScalarES6_ldRNS1_6TensorEENKUlvE0_clEvENKUlvE4_clEvEUllE_EEvT_T0_PN15function_traitsISD_E11result_typeE.num_vgpr, 31
	.set _ZN12_GLOBAL__N_141elementwise_kernel_with_index_grid_strideIiZZZN2at6native17logspace_cuda_outERKN3c106ScalarES6_ldRNS1_6TensorEENKUlvE0_clEvENKUlvE4_clEvEUllE_EEvT_T0_PN15function_traitsISD_E11result_typeE.num_agpr, 0
	.set _ZN12_GLOBAL__N_141elementwise_kernel_with_index_grid_strideIiZZZN2at6native17logspace_cuda_outERKN3c106ScalarES6_ldRNS1_6TensorEENKUlvE0_clEvENKUlvE4_clEvEUllE_EEvT_T0_PN15function_traitsISD_E11result_typeE.numbered_sgpr, 32
	.set _ZN12_GLOBAL__N_141elementwise_kernel_with_index_grid_strideIiZZZN2at6native17logspace_cuda_outERKN3c106ScalarES6_ldRNS1_6TensorEENKUlvE0_clEvENKUlvE4_clEvEUllE_EEvT_T0_PN15function_traitsISD_E11result_typeE.num_named_barrier, 0
	.set _ZN12_GLOBAL__N_141elementwise_kernel_with_index_grid_strideIiZZZN2at6native17logspace_cuda_outERKN3c106ScalarES6_ldRNS1_6TensorEENKUlvE0_clEvENKUlvE4_clEvEUllE_EEvT_T0_PN15function_traitsISD_E11result_typeE.private_seg_size, 0
	.set _ZN12_GLOBAL__N_141elementwise_kernel_with_index_grid_strideIiZZZN2at6native17logspace_cuda_outERKN3c106ScalarES6_ldRNS1_6TensorEENKUlvE0_clEvENKUlvE4_clEvEUllE_EEvT_T0_PN15function_traitsISD_E11result_typeE.uses_vcc, 1
	.set _ZN12_GLOBAL__N_141elementwise_kernel_with_index_grid_strideIiZZZN2at6native17logspace_cuda_outERKN3c106ScalarES6_ldRNS1_6TensorEENKUlvE0_clEvENKUlvE4_clEvEUllE_EEvT_T0_PN15function_traitsISD_E11result_typeE.uses_flat_scratch, 0
	.set _ZN12_GLOBAL__N_141elementwise_kernel_with_index_grid_strideIiZZZN2at6native17logspace_cuda_outERKN3c106ScalarES6_ldRNS1_6TensorEENKUlvE0_clEvENKUlvE4_clEvEUllE_EEvT_T0_PN15function_traitsISD_E11result_typeE.has_dyn_sized_stack, 0
	.set _ZN12_GLOBAL__N_141elementwise_kernel_with_index_grid_strideIiZZZN2at6native17logspace_cuda_outERKN3c106ScalarES6_ldRNS1_6TensorEENKUlvE0_clEvENKUlvE4_clEvEUllE_EEvT_T0_PN15function_traitsISD_E11result_typeE.has_recursion, 0
	.set _ZN12_GLOBAL__N_141elementwise_kernel_with_index_grid_strideIiZZZN2at6native17logspace_cuda_outERKN3c106ScalarES6_ldRNS1_6TensorEENKUlvE0_clEvENKUlvE4_clEvEUllE_EEvT_T0_PN15function_traitsISD_E11result_typeE.has_indirect_call, 0
	.section	.AMDGPU.csdata,"",@progbits
; Kernel info:
; codeLenInByte = 1676
; TotalNumSgprs: 38
; NumVgprs: 31
; NumAgprs: 0
; TotalNumVgprs: 31
; ScratchSize: 0
; MemoryBound: 0
; FloatMode: 240
; IeeeMode: 1
; LDSByteSize: 0 bytes/workgroup (compile time only)
; SGPRBlocks: 4
; VGPRBlocks: 3
; NumSGPRsForWavesPerEU: 38
; NumVGPRsForWavesPerEU: 31
; AccumOffset: 32
; Occupancy: 8
; WaveLimiterHint : 0
; COMPUTE_PGM_RSRC2:SCRATCH_EN: 0
; COMPUTE_PGM_RSRC2:USER_SGPR: 2
; COMPUTE_PGM_RSRC2:TRAP_HANDLER: 0
; COMPUTE_PGM_RSRC2:TGID_X_EN: 1
; COMPUTE_PGM_RSRC2:TGID_Y_EN: 0
; COMPUTE_PGM_RSRC2:TGID_Z_EN: 0
; COMPUTE_PGM_RSRC2:TIDIG_COMP_CNT: 0
; COMPUTE_PGM_RSRC3_GFX90A:ACCUM_OFFSET: 7
; COMPUTE_PGM_RSRC3_GFX90A:TG_SPLIT: 0
	.section	.text._ZN12_GLOBAL__N_141elementwise_kernel_with_index_grid_strideIlZZZN2at6native17logspace_cuda_outERKN3c106ScalarES6_ldRNS1_6TensorEENKUlvE0_clEvENKUlvE4_clEvEUllE_EEvT_T0_PN15function_traitsISD_E11result_typeE,"axG",@progbits,_ZN12_GLOBAL__N_141elementwise_kernel_with_index_grid_strideIlZZZN2at6native17logspace_cuda_outERKN3c106ScalarES6_ldRNS1_6TensorEENKUlvE0_clEvENKUlvE4_clEvEUllE_EEvT_T0_PN15function_traitsISD_E11result_typeE,comdat
	.globl	_ZN12_GLOBAL__N_141elementwise_kernel_with_index_grid_strideIlZZZN2at6native17logspace_cuda_outERKN3c106ScalarES6_ldRNS1_6TensorEENKUlvE0_clEvENKUlvE4_clEvEUllE_EEvT_T0_PN15function_traitsISD_E11result_typeE ; -- Begin function _ZN12_GLOBAL__N_141elementwise_kernel_with_index_grid_strideIlZZZN2at6native17logspace_cuda_outERKN3c106ScalarES6_ldRNS1_6TensorEENKUlvE0_clEvENKUlvE4_clEvEUllE_EEvT_T0_PN15function_traitsISD_E11result_typeE
	.p2align	8
	.type	_ZN12_GLOBAL__N_141elementwise_kernel_with_index_grid_strideIlZZZN2at6native17logspace_cuda_outERKN3c106ScalarES6_ldRNS1_6TensorEENKUlvE0_clEvENKUlvE4_clEvEUllE_EEvT_T0_PN15function_traitsISD_E11result_typeE,@function
_ZN12_GLOBAL__N_141elementwise_kernel_with_index_grid_strideIlZZZN2at6native17logspace_cuda_outERKN3c106ScalarES6_ldRNS1_6TensorEENKUlvE0_clEvENKUlvE4_clEvEUllE_EEvT_T0_PN15function_traitsISD_E11result_typeE: ; @_ZN12_GLOBAL__N_141elementwise_kernel_with_index_grid_strideIlZZZN2at6native17logspace_cuda_outERKN3c106ScalarES6_ldRNS1_6TensorEENKUlvE0_clEvENKUlvE4_clEvEUllE_EEvT_T0_PN15function_traitsISD_E11result_typeE
; %bb.0:
	s_load_dword s3, s[0:1], 0x3c
	s_load_dwordx2 s[8:9], s[0:1], 0x0
	s_add_u32 s10, s0, 48
	s_addc_u32 s11, s1, 0
	v_mov_b32_e32 v1, 0
	s_waitcnt lgkmcnt(0)
	s_and_b32 s3, s3, 0xffff
	v_mov_b32_e32 v2, s2
	v_mad_u64_u32 v[0:1], s[4:5], s3, v2, v[0:1]
	v_cmp_gt_i64_e32 vcc, s[8:9], v[0:1]
	s_and_saveexec_b64 s[4:5], vcc
	s_cbranch_execz .LBB45_7
; %bb.1:
	s_load_dwordx4 s[4:7], s[0:1], 0x20
	s_load_dword s2, s[10:11], 0x0
	s_load_dwordx4 s[12:15], s[0:1], 0x8
	s_load_dword s16, s[0:1], 0x18
	v_not_b32_e32 v3, v1
	s_waitcnt lgkmcnt(0)
	v_mov_b32_e32 v4, s6
	v_mov_b32_e32 v5, s7
	s_mul_hi_u32 s7, s3, s2
	s_mul_i32 s6, s3, s2
	s_lshl_b32 s0, s13, 16
	v_not_b32_e32 v2, v0
	s_mov_b32 s18, 0x31739010
	s_lshl_b32 s16, s16, 16
	s_pack_lh_b32_b16 s20, 0, s12
	s_lshl_b32 s21, s12, 16
	v_cmp_eq_f32_e64 s[10:11], s0, 1.0
	v_lshl_add_u64 v[2:3], v[2:3], 0, s[14:15]
	v_lshl_add_u64 v[4:5], v[0:1], 1, v[4:5]
	s_lshl_b64 s[12:13], s[6:7], 1
	s_mov_b64 s[14:15], 0
	s_movk_i32 s22, 0x7fff
	v_mov_b32_e32 v8, 0x7fc00000
	v_mov_b32_e32 v9, s0
	s_mov_b32 s23, 0x3f2aaaab
	v_mov_b32_e32 v10, 0x3e91f4c4
	s_mov_b32 s17, 0x3f2aaaaa
	s_mov_b32 s19, 0xbf2aaaaa
	;; [unrolled: 1-line block ×3, first 2 shown]
	s_movk_i32 s25, 0x204
	s_mov_b32 s26, 0x7f800000
	s_mov_b32 s27, 0x42b17218
	v_mov_b32_e32 v11, 0x37000000
	s_mov_b32 s28, 0x3fb8aa3b
	s_mov_b32 s29, 0xc2ce8ed0
	v_mov_b32_e32 v12, 0x7f800000
	s_brev_b32 s30, -2
	v_mov_b32_e32 v13, 0x7fc0
	v_mov_b32_e32 v14, s7
	;; [unrolled: 1-line block ×3, first 2 shown]
                                        ; implicit-def: $vgpr6
	s_branch .LBB45_3
.LBB45_2:                               ;   in Loop: Header=BB45_3 Depth=1
	s_or_b64 exec, exec, s[0:1]
	v_bfe_u32 v15, v6, 16, 1
	v_add3_u32 v15, v6, v15, s22
	v_and_b32_e32 v15, 0xffff0000, v15
	v_cmp_o_f32_e32 vcc, v6, v6
	v_lshl_add_u64 v[0:1], v[0:1], 0, s[6:7]
	s_nop 0
	v_cndmask_b32_e32 v6, v8, v15, vcc
	v_cndmask_b32_e64 v15, v6, 1.0, s[10:11]
	v_cmp_neq_f32_e32 vcc, 0, v15
	v_cmp_neq_f32_e64 s[2:3], v15, |v15|
	s_nop 0
	v_cndmask_b32_e32 v30, 1.0, v9, vcc
	v_frexp_mant_f32_e64 v6, |v30|
	v_cmp_gt_f32_e32 vcc, s23, v6
	v_cmp_lt_f32_e64 s[34:35], |v30|, 1.0
	s_xor_b64 s[2:3], s[2:3], s[34:35]
	v_cndmask_b32_e64 v16, 1.0, 2.0, vcc
	v_mul_f32_e32 v6, v6, v16
	v_add_f32_e32 v16, 1.0, v6
	v_rcp_f32_e32 v24, v16
	v_add_f32_e32 v17, -1.0, v16
	v_sub_f32_e32 v19, v6, v17
	v_add_f32_e32 v17, -1.0, v6
	v_mul_f32_e32 v6, v17, v24
	v_mul_f32_e32 v18, v16, v6
	v_fma_f32 v20, v6, v16, -v18
	v_fmac_f32_e32 v20, v6, v19
	v_add_f32_e32 v16, v18, v20
	v_sub_f32_e32 v19, v17, v16
	v_pk_add_f32 v[22:23], v[16:17], v[18:19] neg_lo:[0,1] neg_hi:[0,1]
	v_mov_b32_e32 v21, v16
	v_pk_add_f32 v[16:17], v[22:23], v[20:21] neg_lo:[0,1] neg_hi:[0,1]
	v_cmp_class_f32_e64 s[34:35], v30, s25
	v_add_f32_e32 v16, v16, v17
	v_add_f32_e32 v16, v19, v16
	v_mul_f32_e32 v17, v24, v16
	v_add_f32_e32 v16, v6, v17
	v_sub_f32_e32 v6, v16, v6
	v_sub_f32_e32 v26, v17, v6
	v_mul_f32_e32 v6, v16, v16
	v_fma_f32 v17, v16, v16, -v6
	v_add_f32_e32 v18, v26, v26
	v_fmac_f32_e32 v17, v16, v18
	v_add_f32_e32 v18, v6, v17
	v_fmamk_f32 v19, v18, 0x3e76c4e1, v10
	v_fmaak_f32 v19, v18, v19, 0x3ecccdef
	v_sub_f32_e32 v6, v18, v6
	v_sub_f32_e32 v27, v17, v6
	v_mul_f32_e32 v17, v18, v19
	v_fma_f32 v6, v18, v19, -v17
	v_fmac_f32_e32 v6, v27, v19
	v_add_f32_e32 v21, v17, v6
	v_sub_f32_e32 v20, v21, v17
	v_pk_add_f32 v[22:23], v[6:7], v[20:21] neg_lo:[0,1] neg_hi:[0,1]
	v_pk_add_f32 v[24:25], v[20:21], s[16:17]
	s_nop 0
	v_mov_b32_e32 v23, v25
	v_pk_add_f32 v[22:23], v[22:23], s[18:19]
	s_nop 0
	v_sub_f32_e32 v19, v21, v23
	v_mov_b32_e32 v17, v22
	v_pk_mul_f32 v[20:21], v[16:17], v[18:19]
	v_pk_add_f32 v[22:23], v[22:23], v[18:19] op_sel_hi:[0,1]
	v_fma_f32 v24, v18, v16, -v20
	v_fmac_f32_e32 v24, v18, v26
	v_mov_b32_e32 v21, v23
	v_fmac_f32_e32 v24, v27, v16
	v_pk_add_f32 v[18:19], v[20:21], v[24:25]
	s_nop 0
	v_sub_f32_e32 v17, v25, v19
	v_sub_f32_e32 v6, v18, v20
	v_add_f32_e32 v17, v23, v17
	v_pk_mul_f32 v[20:21], v[18:19], v[18:19] op_sel:[0,1] op_sel_hi:[1,0]
	v_cvt_f64_f32_e64 v[22:23], |v30|
	v_frexp_exp_i32_f64_e32 v21, v[22:23]
	v_subbrev_co_u32_e32 v21, vcc, 0, v21, vcc
	v_cvt_f32_i32_e32 v21, v21
	v_fma_f32 v22, v18, v19, -v20
	v_sub_f32_e32 v6, v24, v6
	v_fmac_f32_e32 v22, v18, v17
	v_mul_f32_e32 v18, 0x3f317218, v21
	v_fmac_f32_e32 v22, v6, v19
	v_fma_f32 v24, v21, s24, -v18
	v_fmac_f32_e32 v24, 0xb102e308, v21
	v_ldexp_f32 v25, v16, 1
	v_add_f32_e32 v19, v20, v22
	v_pk_add_f32 v[16:17], v[18:19], v[24:25]
	v_ldexp_f32 v6, v26, 1
	v_mov_b32_e32 v26, v19
	v_mov_b32_e32 v27, v17
	;; [unrolled: 1-line block ×3, first 2 shown]
	v_pk_add_f32 v[20:21], v[26:27], v[20:21] neg_lo:[0,1] neg_hi:[0,1]
	v_mov_b32_e32 v23, v19
	v_pk_add_f32 v[20:21], v[22:23], v[20:21] neg_lo:[0,1] neg_hi:[0,1]
	v_mov_b32_e32 v25, v16
	v_add_f32_e32 v6, v6, v20
	v_add_f32_e32 v19, v6, v21
	v_pk_add_f32 v[20:21], v[16:17], v[18:19] neg_lo:[0,1] neg_hi:[0,1]
	v_pk_add_f32 v[22:23], v[16:17], v[18:19]
	v_mov_b32_e32 v18, v19
	v_mov_b32_e32 v21, v23
	v_pk_add_f32 v[26:27], v[24:25], v[20:21] neg_lo:[0,1] neg_hi:[0,1]
	v_pk_add_f32 v[20:21], v[24:25], v[20:21]
	v_mov_b32_e32 v19, v16
	v_pk_add_f32 v[24:25], v[20:21], v[16:17] op_sel:[1,0] op_sel_hi:[0,1] neg_lo:[0,1] neg_hi:[0,1]
	v_pk_add_f32 v[28:29], v[22:23], v[24:25] op_sel_hi:[1,0] neg_lo:[0,1] neg_hi:[0,1]
	v_mov_b32_e32 v22, v23
	v_mov_b32_e32 v23, v21
	v_pk_mov_b32 v[24:25], v[16:17], v[24:25] op_sel:[1,0]
	v_mov_b32_e32 v28, v26
	v_pk_add_f32 v[22:23], v[22:23], v[24:25] neg_lo:[0,1] neg_hi:[0,1]
	v_mov_b32_e32 v27, v21
	v_pk_add_f32 v[16:17], v[18:19], v[22:23] neg_lo:[0,1] neg_hi:[0,1]
	s_nop 0
	v_pk_add_f32 v[18:19], v[28:29], v[16:17]
	s_nop 0
	v_pk_add_f32 v[22:23], v[18:19], v[18:19] op_sel:[0,1] op_sel_hi:[1,0]
	s_nop 0
	v_pk_add_f32 v[20:21], v[20:21], v[22:23] op_sel:[1,0] op_sel_hi:[0,1]
	v_mov_b32_e32 v19, v20
	v_pk_add_f32 v[24:25], v[18:19], v[26:27] neg_lo:[0,1] neg_hi:[0,1]
	v_mov_b32_e32 v17, v22
	v_sub_f32_e32 v6, v18, v24
	v_pk_add_f32 v[16:17], v[16:17], v[24:25] neg_lo:[0,1] neg_hi:[0,1]
	v_sub_f32_e32 v6, v26, v6
	v_add_f32_e32 v6, v16, v6
	v_add_f32_e32 v6, v6, v17
	;; [unrolled: 1-line block ×3, first 2 shown]
	v_sub_f32_e32 v17, v16, v20
	v_sub_f32_e32 v6, v6, v17
	v_mul_f32_e32 v17, v15, v16
	v_fma_f32 v16, v15, v16, -v17
	v_fmac_f32_e32 v16, v15, v6
	v_add_f32_e32 v6, v17, v16
	v_cmp_class_f32_e64 vcc, v17, s25
	v_sub_f32_e32 v18, v6, v17
	v_sub_f32_e32 v16, v16, v18
	v_cndmask_b32_e32 v6, v6, v17, vcc
	v_cmp_eq_f32_e32 vcc, s27, v6
	s_nop 1
	v_cndmask_b32_e32 v17, 0, v11, vcc
	v_sub_f32_e32 v18, v6, v17
	v_mul_f32_e32 v19, 0x3fb8aa3b, v18
	v_fma_f32 v20, v18, s28, -v19
	v_rndne_f32_e32 v21, v19
	v_fmac_f32_e32 v20, 0x32a5705f, v18
	v_sub_f32_e32 v19, v19, v21
	v_add_f32_e32 v19, v19, v20
	v_exp_f32_e32 v19, v19
	v_cvt_i32_f32_e32 v20, v21
	v_cmp_neq_f32_e64 vcc, |v6|, s26
	s_nop 1
	v_cndmask_b32_e32 v6, 0, v16, vcc
	v_ldexp_f32 v16, v19, v20
	v_cmp_ngt_f32_e32 vcc, s29, v18
	v_add_f32_e32 v6, v17, v6
	s_nop 0
	v_cndmask_b32_e32 v16, 0, v16, vcc
	v_cmp_nlt_f32_e32 vcc, s27, v18
	s_nop 1
	v_cndmask_b32_e32 v16, v12, v16, vcc
	v_fma_f32 v6, v16, v6, v16
	v_cmp_class_f32_e64 vcc, v16, s25
	s_nop 1
	v_cndmask_b32_e32 v6, v6, v16, vcc
	v_trunc_f32_e32 v16, v15
	v_cmp_eq_f32_e32 vcc, v16, v15
	v_mul_f32_e32 v16, 0.5, v15
	v_trunc_f32_e32 v17, v16
	v_cmp_neq_f32_e64 s[0:1], v17, v16
	s_and_b64 s[0:1], vcc, s[0:1]
	s_nop 0
	v_cndmask_b32_e64 v16, 1.0, v30, s[0:1]
	v_bfi_b32 v6, s30, v6, v16
	v_cndmask_b32_e32 v16, v8, v6, vcc
	v_cmp_gt_f32_e32 vcc, 0, v30
	v_cndmask_b32_e64 v17, 0, v30, s[0:1]
	s_nop 0
	v_cndmask_b32_e32 v6, v6, v16, vcc
	v_cndmask_b32_e64 v16, v12, 0, s[2:3]
	v_cmp_neq_f32_e64 vcc, |v30|, 1.0
	v_cmp_gt_f32_e64 s[2:3], 0, v15
	s_nop 0
	v_cndmask_b32_e32 v16, 1.0, v16, vcc
	v_cmp_class_f32_e64 vcc, v15, s25
	s_nop 1
	v_cndmask_b32_e32 v6, v6, v16, vcc
	v_cmp_eq_f32_e32 vcc, 0, v30
	s_xor_b64 s[2:3], s[2:3], vcc
	v_cndmask_b32_e64 v16, v12, 0, s[2:3]
	v_bfi_b32 v16, s30, v16, v17
	s_or_b64 vcc, vcc, s[34:35]
	v_cndmask_b32_e32 v6, v6, v16, vcc
	v_cmp_o_f32_e32 vcc, v30, v15
	s_nop 1
	v_cndmask_b32_e32 v6, v8, v6, vcc
	v_bfe_u32 v15, v6, 16, 1
	v_add3_u32 v15, v6, v15, s22
	v_lshrrev_b32_e32 v15, 16, v15
	v_cmp_o_f32_e32 vcc, v6, v6
	s_nop 1
	v_cndmask_b32_e32 v6, v13, v15, vcc
	v_subrev_co_u32_e32 v2, vcc, s6, v2
	global_store_short v[4:5], v6, off
	s_nop 0
	v_subb_co_u32_e32 v3, vcc, v3, v14, vcc
	v_cmp_le_i64_e32 vcc, s[8:9], v[0:1]
	s_or_b64 s[14:15], vcc, s[14:15]
	v_lshl_add_u64 v[4:5], v[4:5], 0, s[12:13]
	s_andn2_b64 exec, exec, s[14:15]
	s_cbranch_execz .LBB45_7
.LBB45_3:                               ; =>This Inner Loop Header: Depth=1
	v_cmp_le_i64_e32 vcc, s[4:5], v[0:1]
                                        ; implicit-def: $vgpr6
	s_and_saveexec_b64 s[0:1], vcc
	s_xor_b64 s[0:1], exec, s[0:1]
	s_cbranch_execz .LBB45_5
; %bb.4:                                ;   in Loop: Header=BB45_3 Depth=1
	v_xor_b32_e32 v15, v2, v3
	v_ffbh_i32_e32 v6, v3
	v_ashrrev_i32_e32 v15, 31, v15
	v_add_u32_e32 v6, -1, v6
	v_add_u32_e32 v15, 32, v15
	v_min_u32_e32 v6, v6, v15
	v_lshlrev_b64 v[16:17], v6, v[2:3]
	v_min_u32_e32 v15, 1, v16
	v_or_b32_e32 v15, v17, v15
	v_cvt_f32_i32_e32 v15, v15
	v_sub_u32_e32 v6, 32, v6
	v_ldexp_f32 v6, v15, v6
	v_bfe_u32 v15, v6, 16, 1
	v_add3_u32 v6, v6, v15, s22
	v_and_b32_e32 v6, 0xffff0000, v6
	v_mul_f32_e32 v6, s16, v6
	v_bfe_u32 v15, v6, 16, 1
	v_add3_u32 v15, v6, v15, s22
	v_and_b32_e32 v15, 0xffff0000, v15
	v_cmp_o_f32_e32 vcc, v6, v6
	s_nop 1
	v_cndmask_b32_e32 v6, v8, v15, vcc
	v_sub_f32_e32 v6, s20, v6
.LBB45_5:                               ;   in Loop: Header=BB45_3 Depth=1
	s_andn2_saveexec_b64 s[0:1], s[0:1]
	s_cbranch_execz .LBB45_2
; %bb.6:                                ;   in Loop: Header=BB45_3 Depth=1
	v_ffbh_u32_e32 v6, v1
	v_min_u32_e32 v6, 32, v6
	v_lshlrev_b64 v[16:17], v6, v[0:1]
	v_min_u32_e32 v15, 1, v16
	v_or_b32_e32 v15, v17, v15
	v_cvt_f32_u32_e32 v15, v15
	v_sub_u32_e32 v6, 32, v6
	v_ldexp_f32 v6, v15, v6
	v_bfe_u32 v15, v6, 16, 1
	v_add3_u32 v6, v6, v15, s22
	v_and_b32_e32 v6, 0xffff0000, v6
	v_mul_f32_e32 v6, s16, v6
	v_bfe_u32 v15, v6, 16, 1
	v_add3_u32 v15, v6, v15, s22
	v_and_b32_e32 v15, 0xffff0000, v15
	v_cmp_o_f32_e32 vcc, v6, v6
	s_nop 1
	v_cndmask_b32_e32 v6, v8, v15, vcc
	v_add_f32_e32 v6, s21, v6
	s_branch .LBB45_2
.LBB45_7:
	s_endpgm
	.section	.rodata,"a",@progbits
	.p2align	6, 0x0
	.amdhsa_kernel _ZN12_GLOBAL__N_141elementwise_kernel_with_index_grid_strideIlZZZN2at6native17logspace_cuda_outERKN3c106ScalarES6_ldRNS1_6TensorEENKUlvE0_clEvENKUlvE4_clEvEUllE_EEvT_T0_PN15function_traitsISD_E11result_typeE
		.amdhsa_group_segment_fixed_size 0
		.amdhsa_private_segment_fixed_size 0
		.amdhsa_kernarg_size 304
		.amdhsa_user_sgpr_count 2
		.amdhsa_user_sgpr_dispatch_ptr 0
		.amdhsa_user_sgpr_queue_ptr 0
		.amdhsa_user_sgpr_kernarg_segment_ptr 1
		.amdhsa_user_sgpr_dispatch_id 0
		.amdhsa_user_sgpr_kernarg_preload_length 0
		.amdhsa_user_sgpr_kernarg_preload_offset 0
		.amdhsa_user_sgpr_private_segment_size 0
		.amdhsa_uses_dynamic_stack 0
		.amdhsa_enable_private_segment 0
		.amdhsa_system_sgpr_workgroup_id_x 1
		.amdhsa_system_sgpr_workgroup_id_y 0
		.amdhsa_system_sgpr_workgroup_id_z 0
		.amdhsa_system_sgpr_workgroup_info 0
		.amdhsa_system_vgpr_workitem_id 0
		.amdhsa_next_free_vgpr 31
		.amdhsa_next_free_sgpr 36
		.amdhsa_accum_offset 32
		.amdhsa_reserve_vcc 1
		.amdhsa_float_round_mode_32 0
		.amdhsa_float_round_mode_16_64 0
		.amdhsa_float_denorm_mode_32 3
		.amdhsa_float_denorm_mode_16_64 3
		.amdhsa_dx10_clamp 1
		.amdhsa_ieee_mode 1
		.amdhsa_fp16_overflow 0
		.amdhsa_tg_split 0
		.amdhsa_exception_fp_ieee_invalid_op 0
		.amdhsa_exception_fp_denorm_src 0
		.amdhsa_exception_fp_ieee_div_zero 0
		.amdhsa_exception_fp_ieee_overflow 0
		.amdhsa_exception_fp_ieee_underflow 0
		.amdhsa_exception_fp_ieee_inexact 0
		.amdhsa_exception_int_div_zero 0
	.end_amdhsa_kernel
	.section	.text._ZN12_GLOBAL__N_141elementwise_kernel_with_index_grid_strideIlZZZN2at6native17logspace_cuda_outERKN3c106ScalarES6_ldRNS1_6TensorEENKUlvE0_clEvENKUlvE4_clEvEUllE_EEvT_T0_PN15function_traitsISD_E11result_typeE,"axG",@progbits,_ZN12_GLOBAL__N_141elementwise_kernel_with_index_grid_strideIlZZZN2at6native17logspace_cuda_outERKN3c106ScalarES6_ldRNS1_6TensorEENKUlvE0_clEvENKUlvE4_clEvEUllE_EEvT_T0_PN15function_traitsISD_E11result_typeE,comdat
.Lfunc_end45:
	.size	_ZN12_GLOBAL__N_141elementwise_kernel_with_index_grid_strideIlZZZN2at6native17logspace_cuda_outERKN3c106ScalarES6_ldRNS1_6TensorEENKUlvE0_clEvENKUlvE4_clEvEUllE_EEvT_T0_PN15function_traitsISD_E11result_typeE, .Lfunc_end45-_ZN12_GLOBAL__N_141elementwise_kernel_with_index_grid_strideIlZZZN2at6native17logspace_cuda_outERKN3c106ScalarES6_ldRNS1_6TensorEENKUlvE0_clEvENKUlvE4_clEvEUllE_EEvT_T0_PN15function_traitsISD_E11result_typeE
                                        ; -- End function
	.set _ZN12_GLOBAL__N_141elementwise_kernel_with_index_grid_strideIlZZZN2at6native17logspace_cuda_outERKN3c106ScalarES6_ldRNS1_6TensorEENKUlvE0_clEvENKUlvE4_clEvEUllE_EEvT_T0_PN15function_traitsISD_E11result_typeE.num_vgpr, 31
	.set _ZN12_GLOBAL__N_141elementwise_kernel_with_index_grid_strideIlZZZN2at6native17logspace_cuda_outERKN3c106ScalarES6_ldRNS1_6TensorEENKUlvE0_clEvENKUlvE4_clEvEUllE_EEvT_T0_PN15function_traitsISD_E11result_typeE.num_agpr, 0
	.set _ZN12_GLOBAL__N_141elementwise_kernel_with_index_grid_strideIlZZZN2at6native17logspace_cuda_outERKN3c106ScalarES6_ldRNS1_6TensorEENKUlvE0_clEvENKUlvE4_clEvEUllE_EEvT_T0_PN15function_traitsISD_E11result_typeE.numbered_sgpr, 36
	.set _ZN12_GLOBAL__N_141elementwise_kernel_with_index_grid_strideIlZZZN2at6native17logspace_cuda_outERKN3c106ScalarES6_ldRNS1_6TensorEENKUlvE0_clEvENKUlvE4_clEvEUllE_EEvT_T0_PN15function_traitsISD_E11result_typeE.num_named_barrier, 0
	.set _ZN12_GLOBAL__N_141elementwise_kernel_with_index_grid_strideIlZZZN2at6native17logspace_cuda_outERKN3c106ScalarES6_ldRNS1_6TensorEENKUlvE0_clEvENKUlvE4_clEvEUllE_EEvT_T0_PN15function_traitsISD_E11result_typeE.private_seg_size, 0
	.set _ZN12_GLOBAL__N_141elementwise_kernel_with_index_grid_strideIlZZZN2at6native17logspace_cuda_outERKN3c106ScalarES6_ldRNS1_6TensorEENKUlvE0_clEvENKUlvE4_clEvEUllE_EEvT_T0_PN15function_traitsISD_E11result_typeE.uses_vcc, 1
	.set _ZN12_GLOBAL__N_141elementwise_kernel_with_index_grid_strideIlZZZN2at6native17logspace_cuda_outERKN3c106ScalarES6_ldRNS1_6TensorEENKUlvE0_clEvENKUlvE4_clEvEUllE_EEvT_T0_PN15function_traitsISD_E11result_typeE.uses_flat_scratch, 0
	.set _ZN12_GLOBAL__N_141elementwise_kernel_with_index_grid_strideIlZZZN2at6native17logspace_cuda_outERKN3c106ScalarES6_ldRNS1_6TensorEENKUlvE0_clEvENKUlvE4_clEvEUllE_EEvT_T0_PN15function_traitsISD_E11result_typeE.has_dyn_sized_stack, 0
	.set _ZN12_GLOBAL__N_141elementwise_kernel_with_index_grid_strideIlZZZN2at6native17logspace_cuda_outERKN3c106ScalarES6_ldRNS1_6TensorEENKUlvE0_clEvENKUlvE4_clEvEUllE_EEvT_T0_PN15function_traitsISD_E11result_typeE.has_recursion, 0
	.set _ZN12_GLOBAL__N_141elementwise_kernel_with_index_grid_strideIlZZZN2at6native17logspace_cuda_outERKN3c106ScalarES6_ldRNS1_6TensorEENKUlvE0_clEvENKUlvE4_clEvEUllE_EEvT_T0_PN15function_traitsISD_E11result_typeE.has_indirect_call, 0
	.section	.AMDGPU.csdata,"",@progbits
; Kernel info:
; codeLenInByte = 1716
; TotalNumSgprs: 42
; NumVgprs: 31
; NumAgprs: 0
; TotalNumVgprs: 31
; ScratchSize: 0
; MemoryBound: 0
; FloatMode: 240
; IeeeMode: 1
; LDSByteSize: 0 bytes/workgroup (compile time only)
; SGPRBlocks: 5
; VGPRBlocks: 3
; NumSGPRsForWavesPerEU: 42
; NumVGPRsForWavesPerEU: 31
; AccumOffset: 32
; Occupancy: 8
; WaveLimiterHint : 0
; COMPUTE_PGM_RSRC2:SCRATCH_EN: 0
; COMPUTE_PGM_RSRC2:USER_SGPR: 2
; COMPUTE_PGM_RSRC2:TRAP_HANDLER: 0
; COMPUTE_PGM_RSRC2:TGID_X_EN: 1
; COMPUTE_PGM_RSRC2:TGID_Y_EN: 0
; COMPUTE_PGM_RSRC2:TGID_Z_EN: 0
; COMPUTE_PGM_RSRC2:TIDIG_COMP_CNT: 0
; COMPUTE_PGM_RSRC3_GFX90A:ACCUM_OFFSET: 7
; COMPUTE_PGM_RSRC3_GFX90A:TG_SPLIT: 0
	.section	.text._ZN12_GLOBAL__N_141elementwise_kernel_with_index_grid_strideIiZZZN2at6native14range_cuda_outERKN3c106ScalarES6_S6_RNS1_6TensorEENKUlvE_clEvENKUlvE_clEvEUllE_EEvT_T0_PN15function_traitsISD_E11result_typeE,"axG",@progbits,_ZN12_GLOBAL__N_141elementwise_kernel_with_index_grid_strideIiZZZN2at6native14range_cuda_outERKN3c106ScalarES6_S6_RNS1_6TensorEENKUlvE_clEvENKUlvE_clEvEUllE_EEvT_T0_PN15function_traitsISD_E11result_typeE,comdat
	.globl	_ZN12_GLOBAL__N_141elementwise_kernel_with_index_grid_strideIiZZZN2at6native14range_cuda_outERKN3c106ScalarES6_S6_RNS1_6TensorEENKUlvE_clEvENKUlvE_clEvEUllE_EEvT_T0_PN15function_traitsISD_E11result_typeE ; -- Begin function _ZN12_GLOBAL__N_141elementwise_kernel_with_index_grid_strideIiZZZN2at6native14range_cuda_outERKN3c106ScalarES6_S6_RNS1_6TensorEENKUlvE_clEvENKUlvE_clEvEUllE_EEvT_T0_PN15function_traitsISD_E11result_typeE
	.p2align	8
	.type	_ZN12_GLOBAL__N_141elementwise_kernel_with_index_grid_strideIiZZZN2at6native14range_cuda_outERKN3c106ScalarES6_S6_RNS1_6TensorEENKUlvE_clEvENKUlvE_clEvEUllE_EEvT_T0_PN15function_traitsISD_E11result_typeE,@function
_ZN12_GLOBAL__N_141elementwise_kernel_with_index_grid_strideIiZZZN2at6native14range_cuda_outERKN3c106ScalarES6_S6_RNS1_6TensorEENKUlvE_clEvENKUlvE_clEvEUllE_EEvT_T0_PN15function_traitsISD_E11result_typeE: ; @_ZN12_GLOBAL__N_141elementwise_kernel_with_index_grid_strideIiZZZN2at6native14range_cuda_outERKN3c106ScalarES6_S6_RNS1_6TensorEENKUlvE_clEvENKUlvE_clEvEUllE_EEvT_T0_PN15function_traitsISD_E11result_typeE
; %bb.0:
	s_load_dword s3, s[0:1], 0x2c
	s_load_dword s12, s[0:1], 0x0
	s_add_u32 s10, s0, 32
	s_addc_u32 s11, s1, 0
	s_waitcnt lgkmcnt(0)
	s_and_b32 s3, s3, 0xffff
	s_mul_i32 s4, s2, s3
	v_add_u32_e32 v2, s4, v0
	v_cmp_gt_i32_e32 vcc, s12, v2
	s_and_saveexec_b64 s[4:5], vcc
	s_cbranch_execz .LBB46_8
; %bb.1:
	s_load_dword s13, s[10:11], 0x0
	s_load_dwordx4 s[4:7], s[0:1], 0x8
	s_load_dwordx2 s[8:9], s[0:1], 0x18
	s_waitcnt lgkmcnt(0)
	s_mul_i32 s10, s13, s3
	v_cvt_f32_u32_e32 v1, s10
	s_add_i32 s0, s2, s13
	s_mul_i32 s0, s0, s3
	s_sub_i32 s2, 0, s10
	v_rcp_iflag_f32_e32 v1, v1
	v_add_u32_e32 v3, s0, v0
	v_mov_b32_e32 v4, s0
	v_max_i32_e32 v5, s12, v3
	v_mul_f32_e32 v1, 0x4f7ffffe, v1
	v_cvt_u32_f32_e32 v1, v1
	v_cmp_gt_i32_e32 vcc, s12, v3
	v_mul_lo_u32 v3, s2, v1
	s_nop 0
	v_addc_co_u32_e64 v0, s[0:1], v0, v4, vcc
	v_mul_hi_u32 v3, v1, v3
	v_sub_u32_e32 v0, v5, v0
	v_add_u32_e32 v1, v1, v3
	v_mul_hi_u32 v1, v0, v1
	v_mul_lo_u32 v3, v1, s10
	v_sub_u32_e32 v0, v0, v3
	v_add_u32_e32 v4, 1, v1
	v_cmp_le_u32_e64 s[0:1], s10, v0
	v_subrev_u32_e32 v3, s10, v0
	s_mov_b64 s[2:3], -1
	v_cndmask_b32_e64 v1, v1, v4, s[0:1]
	v_cndmask_b32_e64 v0, v0, v3, s[0:1]
	v_add_u32_e32 v3, 1, v1
	v_cmp_le_u32_e64 s[0:1], s10, v0
	s_nop 1
	v_cndmask_b32_e64 v0, v1, v3, s[0:1]
	v_addc_co_u32_e32 v14, vcc, 1, v0, vcc
	v_cmp_lt_u32_e32 vcc, 3, v14
	s_and_saveexec_b64 s[0:1], vcc
	s_cbranch_execz .LBB46_5
; %bb.2:
	v_add_u32_e32 v3, s10, v2
	v_mad_u64_u32 v[0:1], s[2:3], s10, 3, v[2:3]
	v_lshl_add_u32 v4, s10, 1, v2
	v_mov_b32_e32 v5, v0
	v_and_b32_e32 v15, -4, v14
	s_lshl_b32 s16, s10, 2
	v_mov_b64_e32 v[6:7], v[4:5]
	s_mov_b32 s11, s6
	s_mov_b32 s13, s6
	;; [unrolled: 1-line block ×7, first 2 shown]
	s_mov_b64 s[2:3], 0
	v_mov_b32_e32 v0, s4
	v_mov_b32_e32 v1, s5
	;; [unrolled: 1-line block ×8, first 2 shown]
	s_movk_i32 s20, 0xff
	v_mov_b32_e32 v16, v15
	v_mov_b64_e32 v[4:5], v[2:3]
.LBB46_3:                               ; =>This Inner Loop Header: Depth=1
	v_mad_u64_u32 v[28:29], s[22:23], s13, v5, v[8:9]
	v_mad_u64_u32 v[26:27], s[22:23], s11, v4, v[0:1]
	v_lshlrev_b16_e32 v17, 8, v28
	v_ashrrev_i32_e32 v25, 31, v4
	v_mov_b32_e32 v24, v4
	v_mad_u64_u32 v[32:33], s[22:23], s15, v7, v[12:13]
	v_add_u32_e32 v16, -4, v16
	v_bitop3_b16 v17, v26, v17, s20 bitop3:0xec
	v_ashrrev_i32_e32 v23, 31, v5
	v_mov_b32_e32 v22, v5
	v_mad_u64_u32 v[30:31], s[22:23], s14, v6, v[10:11]
	v_lshlrev_b16_e32 v3, 8, v32
	v_lshl_add_u64 v[24:25], s[8:9], 0, v[24:25]
	v_cmp_eq_u32_e32 vcc, 0, v16
	v_and_b32_e32 v17, 0xffff, v17
	v_ashrrev_i32_e32 v19, 31, v7
	v_mov_b32_e32 v18, v7
	v_ashrrev_i32_e32 v21, 31, v6
	v_mov_b32_e32 v20, v6
	v_add_u32_e32 v7, s19, v7
	v_add_u32_e32 v6, s18, v6
	;; [unrolled: 1-line block ×4, first 2 shown]
	v_lshl_add_u64 v[22:23], s[8:9], 0, v[22:23]
	v_bitop3_b16 v3, v30, v3, s20 bitop3:0xec
	s_or_b64 s[2:3], vcc, s[2:3]
	global_store_byte v[24:25], v17, off
	v_lshrrev_b32_e32 v17, 8, v17
	v_lshl_add_u64 v[20:21], s[8:9], 0, v[20:21]
	v_lshl_add_u64 v[18:19], s[8:9], 0, v[18:19]
	v_lshrrev_b32_e32 v26, 8, v3
	global_store_byte v[22:23], v17, off
	global_store_byte v[20:21], v3, off
	;; [unrolled: 1-line block ×3, first 2 shown]
	s_andn2_b64 exec, exec, s[2:3]
	s_cbranch_execnz .LBB46_3
; %bb.4:
	s_or_b64 exec, exec, s[2:3]
	v_mad_u64_u32 v[2:3], s[2:3], v15, s10, v[2:3]
	v_cmp_ne_u32_e32 vcc, v14, v15
	s_orn2_b64 s[2:3], vcc, exec
.LBB46_5:
	s_or_b64 exec, exec, s[0:1]
	s_and_b64 exec, exec, s[2:3]
	s_cbranch_execz .LBB46_8
; %bb.6:
	v_mov_b64_e32 v[0:1], s[4:5]
	s_ashr_i32 s11, s10, 31
	v_mad_u64_u32 v[0:1], s[0:1], s6, v2, v[0:1]
	v_ashrrev_i32_e32 v3, 31, v2
	s_mul_hi_u32 s0, s6, s10
	s_mul_i32 s1, s6, s11
	v_mul_lo_u32 v4, s7, v2
	v_mul_lo_u32 v5, s6, v3
	s_add_i32 s0, s0, s1
	s_mul_i32 s1, s7, s10
	v_add3_u32 v1, v4, v1, v5
	s_add_i32 s1, s0, s1
	s_mul_i32 s0, s6, s10
	s_mov_b64 s[2:3], 0
.LBB46_7:                               ; =>This Inner Loop Header: Depth=1
	v_lshl_add_u64 v[4:5], s[8:9], 0, v[2:3]
	v_lshl_add_u64 v[2:3], v[2:3], 0, s[10:11]
	v_cmp_le_i32_e32 vcc, s12, v2
	global_store_byte v[4:5], v0, off
	s_or_b64 s[2:3], vcc, s[2:3]
	v_lshl_add_u64 v[0:1], v[0:1], 0, s[0:1]
	s_andn2_b64 exec, exec, s[2:3]
	s_cbranch_execnz .LBB46_7
.LBB46_8:
	s_endpgm
	.section	.rodata,"a",@progbits
	.p2align	6, 0x0
	.amdhsa_kernel _ZN12_GLOBAL__N_141elementwise_kernel_with_index_grid_strideIiZZZN2at6native14range_cuda_outERKN3c106ScalarES6_S6_RNS1_6TensorEENKUlvE_clEvENKUlvE_clEvEUllE_EEvT_T0_PN15function_traitsISD_E11result_typeE
		.amdhsa_group_segment_fixed_size 0
		.amdhsa_private_segment_fixed_size 0
		.amdhsa_kernarg_size 288
		.amdhsa_user_sgpr_count 2
		.amdhsa_user_sgpr_dispatch_ptr 0
		.amdhsa_user_sgpr_queue_ptr 0
		.amdhsa_user_sgpr_kernarg_segment_ptr 1
		.amdhsa_user_sgpr_dispatch_id 0
		.amdhsa_user_sgpr_kernarg_preload_length 0
		.amdhsa_user_sgpr_kernarg_preload_offset 0
		.amdhsa_user_sgpr_private_segment_size 0
		.amdhsa_uses_dynamic_stack 0
		.amdhsa_enable_private_segment 0
		.amdhsa_system_sgpr_workgroup_id_x 1
		.amdhsa_system_sgpr_workgroup_id_y 0
		.amdhsa_system_sgpr_workgroup_id_z 0
		.amdhsa_system_sgpr_workgroup_info 0
		.amdhsa_system_vgpr_workitem_id 0
		.amdhsa_next_free_vgpr 34
		.amdhsa_next_free_sgpr 24
		.amdhsa_accum_offset 36
		.amdhsa_reserve_vcc 1
		.amdhsa_float_round_mode_32 0
		.amdhsa_float_round_mode_16_64 0
		.amdhsa_float_denorm_mode_32 3
		.amdhsa_float_denorm_mode_16_64 3
		.amdhsa_dx10_clamp 1
		.amdhsa_ieee_mode 1
		.amdhsa_fp16_overflow 0
		.amdhsa_tg_split 0
		.amdhsa_exception_fp_ieee_invalid_op 0
		.amdhsa_exception_fp_denorm_src 0
		.amdhsa_exception_fp_ieee_div_zero 0
		.amdhsa_exception_fp_ieee_overflow 0
		.amdhsa_exception_fp_ieee_underflow 0
		.amdhsa_exception_fp_ieee_inexact 0
		.amdhsa_exception_int_div_zero 0
	.end_amdhsa_kernel
	.section	.text._ZN12_GLOBAL__N_141elementwise_kernel_with_index_grid_strideIiZZZN2at6native14range_cuda_outERKN3c106ScalarES6_S6_RNS1_6TensorEENKUlvE_clEvENKUlvE_clEvEUllE_EEvT_T0_PN15function_traitsISD_E11result_typeE,"axG",@progbits,_ZN12_GLOBAL__N_141elementwise_kernel_with_index_grid_strideIiZZZN2at6native14range_cuda_outERKN3c106ScalarES6_S6_RNS1_6TensorEENKUlvE_clEvENKUlvE_clEvEUllE_EEvT_T0_PN15function_traitsISD_E11result_typeE,comdat
.Lfunc_end46:
	.size	_ZN12_GLOBAL__N_141elementwise_kernel_with_index_grid_strideIiZZZN2at6native14range_cuda_outERKN3c106ScalarES6_S6_RNS1_6TensorEENKUlvE_clEvENKUlvE_clEvEUllE_EEvT_T0_PN15function_traitsISD_E11result_typeE, .Lfunc_end46-_ZN12_GLOBAL__N_141elementwise_kernel_with_index_grid_strideIiZZZN2at6native14range_cuda_outERKN3c106ScalarES6_S6_RNS1_6TensorEENKUlvE_clEvENKUlvE_clEvEUllE_EEvT_T0_PN15function_traitsISD_E11result_typeE
                                        ; -- End function
	.set _ZN12_GLOBAL__N_141elementwise_kernel_with_index_grid_strideIiZZZN2at6native14range_cuda_outERKN3c106ScalarES6_S6_RNS1_6TensorEENKUlvE_clEvENKUlvE_clEvEUllE_EEvT_T0_PN15function_traitsISD_E11result_typeE.num_vgpr, 34
	.set _ZN12_GLOBAL__N_141elementwise_kernel_with_index_grid_strideIiZZZN2at6native14range_cuda_outERKN3c106ScalarES6_S6_RNS1_6TensorEENKUlvE_clEvENKUlvE_clEvEUllE_EEvT_T0_PN15function_traitsISD_E11result_typeE.num_agpr, 0
	.set _ZN12_GLOBAL__N_141elementwise_kernel_with_index_grid_strideIiZZZN2at6native14range_cuda_outERKN3c106ScalarES6_S6_RNS1_6TensorEENKUlvE_clEvENKUlvE_clEvEUllE_EEvT_T0_PN15function_traitsISD_E11result_typeE.numbered_sgpr, 24
	.set _ZN12_GLOBAL__N_141elementwise_kernel_with_index_grid_strideIiZZZN2at6native14range_cuda_outERKN3c106ScalarES6_S6_RNS1_6TensorEENKUlvE_clEvENKUlvE_clEvEUllE_EEvT_T0_PN15function_traitsISD_E11result_typeE.num_named_barrier, 0
	.set _ZN12_GLOBAL__N_141elementwise_kernel_with_index_grid_strideIiZZZN2at6native14range_cuda_outERKN3c106ScalarES6_S6_RNS1_6TensorEENKUlvE_clEvENKUlvE_clEvEUllE_EEvT_T0_PN15function_traitsISD_E11result_typeE.private_seg_size, 0
	.set _ZN12_GLOBAL__N_141elementwise_kernel_with_index_grid_strideIiZZZN2at6native14range_cuda_outERKN3c106ScalarES6_S6_RNS1_6TensorEENKUlvE_clEvENKUlvE_clEvEUllE_EEvT_T0_PN15function_traitsISD_E11result_typeE.uses_vcc, 1
	.set _ZN12_GLOBAL__N_141elementwise_kernel_with_index_grid_strideIiZZZN2at6native14range_cuda_outERKN3c106ScalarES6_S6_RNS1_6TensorEENKUlvE_clEvENKUlvE_clEvEUllE_EEvT_T0_PN15function_traitsISD_E11result_typeE.uses_flat_scratch, 0
	.set _ZN12_GLOBAL__N_141elementwise_kernel_with_index_grid_strideIiZZZN2at6native14range_cuda_outERKN3c106ScalarES6_S6_RNS1_6TensorEENKUlvE_clEvENKUlvE_clEvEUllE_EEvT_T0_PN15function_traitsISD_E11result_typeE.has_dyn_sized_stack, 0
	.set _ZN12_GLOBAL__N_141elementwise_kernel_with_index_grid_strideIiZZZN2at6native14range_cuda_outERKN3c106ScalarES6_S6_RNS1_6TensorEENKUlvE_clEvENKUlvE_clEvEUllE_EEvT_T0_PN15function_traitsISD_E11result_typeE.has_recursion, 0
	.set _ZN12_GLOBAL__N_141elementwise_kernel_with_index_grid_strideIiZZZN2at6native14range_cuda_outERKN3c106ScalarES6_S6_RNS1_6TensorEENKUlvE_clEvENKUlvE_clEvEUllE_EEvT_T0_PN15function_traitsISD_E11result_typeE.has_indirect_call, 0
	.section	.AMDGPU.csdata,"",@progbits
; Kernel info:
; codeLenInByte = 740
; TotalNumSgprs: 30
; NumVgprs: 34
; NumAgprs: 0
; TotalNumVgprs: 34
; ScratchSize: 0
; MemoryBound: 0
; FloatMode: 240
; IeeeMode: 1
; LDSByteSize: 0 bytes/workgroup (compile time only)
; SGPRBlocks: 3
; VGPRBlocks: 4
; NumSGPRsForWavesPerEU: 30
; NumVGPRsForWavesPerEU: 34
; AccumOffset: 36
; Occupancy: 8
; WaveLimiterHint : 0
; COMPUTE_PGM_RSRC2:SCRATCH_EN: 0
; COMPUTE_PGM_RSRC2:USER_SGPR: 2
; COMPUTE_PGM_RSRC2:TRAP_HANDLER: 0
; COMPUTE_PGM_RSRC2:TGID_X_EN: 1
; COMPUTE_PGM_RSRC2:TGID_Y_EN: 0
; COMPUTE_PGM_RSRC2:TGID_Z_EN: 0
; COMPUTE_PGM_RSRC2:TIDIG_COMP_CNT: 0
; COMPUTE_PGM_RSRC3_GFX90A:ACCUM_OFFSET: 8
; COMPUTE_PGM_RSRC3_GFX90A:TG_SPLIT: 0
	.section	.text._ZN12_GLOBAL__N_141elementwise_kernel_with_index_grid_strideIlZZZN2at6native14range_cuda_outERKN3c106ScalarES6_S6_RNS1_6TensorEENKUlvE_clEvENKUlvE_clEvEUllE_EEvT_T0_PN15function_traitsISD_E11result_typeE,"axG",@progbits,_ZN12_GLOBAL__N_141elementwise_kernel_with_index_grid_strideIlZZZN2at6native14range_cuda_outERKN3c106ScalarES6_S6_RNS1_6TensorEENKUlvE_clEvENKUlvE_clEvEUllE_EEvT_T0_PN15function_traitsISD_E11result_typeE,comdat
	.globl	_ZN12_GLOBAL__N_141elementwise_kernel_with_index_grid_strideIlZZZN2at6native14range_cuda_outERKN3c106ScalarES6_S6_RNS1_6TensorEENKUlvE_clEvENKUlvE_clEvEUllE_EEvT_T0_PN15function_traitsISD_E11result_typeE ; -- Begin function _ZN12_GLOBAL__N_141elementwise_kernel_with_index_grid_strideIlZZZN2at6native14range_cuda_outERKN3c106ScalarES6_S6_RNS1_6TensorEENKUlvE_clEvENKUlvE_clEvEUllE_EEvT_T0_PN15function_traitsISD_E11result_typeE
	.p2align	8
	.type	_ZN12_GLOBAL__N_141elementwise_kernel_with_index_grid_strideIlZZZN2at6native14range_cuda_outERKN3c106ScalarES6_S6_RNS1_6TensorEENKUlvE_clEvENKUlvE_clEvEUllE_EEvT_T0_PN15function_traitsISD_E11result_typeE,@function
_ZN12_GLOBAL__N_141elementwise_kernel_with_index_grid_strideIlZZZN2at6native14range_cuda_outERKN3c106ScalarES6_S6_RNS1_6TensorEENKUlvE_clEvENKUlvE_clEvEUllE_EEvT_T0_PN15function_traitsISD_E11result_typeE: ; @_ZN12_GLOBAL__N_141elementwise_kernel_with_index_grid_strideIlZZZN2at6native14range_cuda_outERKN3c106ScalarES6_S6_RNS1_6TensorEENKUlvE_clEvENKUlvE_clEvEUllE_EEvT_T0_PN15function_traitsISD_E11result_typeE
; %bb.0:
	s_load_dword s3, s[0:1], 0x2c
	s_load_dwordx8 s[4:11], s[0:1], 0x0
	s_add_u32 s0, s0, 32
	s_addc_u32 s1, s1, 0
	v_mov_b32_e32 v1, 0
	s_waitcnt lgkmcnt(0)
	s_and_b32 s33, s3, 0xffff
	v_mov_b32_e32 v2, s2
	v_mad_u64_u32 v[2:3], s[12:13], s33, v2, v[0:1]
	v_cmp_gt_i64_e32 vcc, s[4:5], v[2:3]
	s_and_saveexec_b64 s[12:13], vcc
	s_cbranch_execz .LBB47_12
; %bb.1:
	s_load_dword s14, s[0:1], 0x0
	v_mov_b32_e32 v4, s33
	s_mov_b32 s15, 0
	v_mov_b32_e32 v5, s15
	s_waitcnt lgkmcnt(0)
	s_add_u32 s3, s2, s14
	s_addc_u32 s18, 0, 0
	s_mul_i32 s18, s18, s33
	v_mad_u64_u32 v[6:7], s[0:1], s3, v4, v[0:1]
	v_add_u32_e32 v7, s18, v7
	v_mov_b32_e32 v4, s5
	v_cmp_gt_i64_e32 vcc, s[4:5], v[6:7]
	s_mul_hi_u32 s13, s33, s14
	s_mul_i32 s12, s33, s14
	v_cndmask_b32_e32 v9, v7, v4, vcc
	v_mov_b32_e32 v4, s4
	v_cndmask_b32_e32 v8, v6, v4, vcc
	v_cndmask_b32_e64 v4, 0, 1, vcc
	v_lshl_add_u64 v[6:7], v[6:7], 0, v[4:5]
	v_sub_co_u32_e32 v8, vcc, v8, v6
	v_mov_b32_e32 v6, v1
	s_nop 0
	v_subb_co_u32_e32 v9, vcc, v9, v7, vcc
	v_or_b32_e32 v7, s13, v9
	v_cmp_ne_u64_e32 vcc, 0, v[6:7]
                                        ; implicit-def: $vgpr6_vgpr7
	s_and_saveexec_b64 s[0:1], vcc
	s_xor_b64 s[16:17], exec, s[0:1]
	s_cbranch_execz .LBB47_3
; %bb.2:
	v_cvt_f32_u32_e32 v6, s12
	v_cvt_f32_u32_e32 v7, s13
	s_sub_u32 s19, 0, s12
	s_subb_u32 s20, 0, s13
	v_mov_b32_e32 v11, 0
	v_fmamk_f32 v6, v7, 0x4f800000, v6
	v_rcp_f32_e32 v6, v6
	s_nop 0
	v_mul_f32_e32 v6, 0x5f7ffffc, v6
	v_mul_f32_e32 v7, 0x2f800000, v6
	v_trunc_f32_e32 v7, v7
	v_fmamk_f32 v6, v7, 0xcf800000, v6
	v_cvt_u32_f32_e32 v7, v7
	v_cvt_u32_f32_e32 v6, v6
	v_readfirstlane_b32 s21, v7
	v_readfirstlane_b32 s0, v6
	s_mul_i32 s1, s19, s21
	s_mul_hi_u32 s23, s19, s0
	s_mul_i32 s22, s20, s0
	s_add_i32 s1, s23, s1
	s_mul_i32 s24, s19, s0
	s_add_i32 s1, s1, s22
	s_mul_i32 s23, s0, s1
	s_mul_hi_u32 s25, s0, s24
	s_mul_hi_u32 s22, s0, s1
	s_add_u32 s23, s25, s23
	s_addc_u32 s22, 0, s22
	s_mul_hi_u32 s26, s21, s24
	s_mul_i32 s24, s21, s24
	s_add_u32 s23, s23, s24
	s_mul_hi_u32 s25, s21, s1
	s_addc_u32 s22, s22, s26
	s_addc_u32 s23, s25, 0
	s_mul_i32 s1, s21, s1
	s_add_u32 s1, s22, s1
	s_addc_u32 s22, 0, s23
	s_add_u32 s23, s0, s1
	s_cselect_b64 s[0:1], -1, 0
	s_cmp_lg_u64 s[0:1], 0
	s_addc_u32 s21, s21, s22
	s_mul_i32 s0, s19, s21
	s_mul_hi_u32 s1, s19, s23
	s_add_i32 s0, s1, s0
	s_mul_i32 s20, s20, s23
	s_add_i32 s0, s0, s20
	s_mul_i32 s19, s19, s23
	s_mul_hi_u32 s20, s21, s19
	s_mul_i32 s22, s21, s19
	s_mul_i32 s25, s23, s0
	s_mul_hi_u32 s19, s23, s19
	s_mul_hi_u32 s24, s23, s0
	s_add_u32 s19, s19, s25
	s_addc_u32 s24, 0, s24
	s_add_u32 s19, s19, s22
	s_mul_hi_u32 s1, s21, s0
	s_addc_u32 s19, s24, s20
	s_addc_u32 s1, s1, 0
	s_mul_i32 s0, s21, s0
	s_add_u32 s0, s19, s0
	s_addc_u32 s19, 0, s1
	s_add_u32 s20, s23, s0
	s_cselect_b64 s[0:1], -1, 0
	s_cmp_lg_u64 s[0:1], 0
	s_addc_u32 s19, s21, s19
	v_mad_u64_u32 v[6:7], s[0:1], v8, s19, 0
	v_mul_hi_u32 v10, v8, s20
	v_lshl_add_u64 v[6:7], v[10:11], 0, v[6:7]
	v_mad_u64_u32 v[14:15], s[0:1], v9, s20, 0
	v_add_co_u32_e32 v6, vcc, v6, v14
	v_mad_u64_u32 v[12:13], s[0:1], v9, s19, 0
	s_nop 0
	v_addc_co_u32_e32 v10, vcc, v7, v15, vcc
	s_nop 1
	v_addc_co_u32_e32 v13, vcc, 0, v13, vcc
	v_lshl_add_u64 v[6:7], v[10:11], 0, v[12:13]
	v_mul_lo_u32 v12, s13, v6
	v_mul_lo_u32 v13, s12, v7
	v_mad_u64_u32 v[10:11], s[0:1], s12, v6, 0
	v_add3_u32 v14, v11, v13, v12
	v_sub_u32_e32 v11, v9, v14
	v_mov_b32_e32 v12, s13
	v_sub_co_u32_e32 v8, vcc, v8, v10
	s_nop 1
	v_subb_co_u32_e64 v10, s[0:1], v11, v12, vcc
	v_subrev_co_u32_e64 v11, s[0:1], s12, v8
	v_subb_co_u32_e32 v9, vcc, v9, v14, vcc
	s_nop 0
	v_subbrev_co_u32_e64 v10, s[0:1], 0, v10, s[0:1]
	v_cmp_le_u32_e64 s[0:1], s13, v10
	v_cmp_le_u32_e32 vcc, s13, v9
	s_nop 0
	v_cndmask_b32_e64 v12, 0, -1, s[0:1]
	v_cmp_le_u32_e64 s[0:1], s12, v11
	s_nop 1
	v_cndmask_b32_e64 v11, 0, -1, s[0:1]
	v_cmp_eq_u32_e64 s[0:1], s13, v10
	s_nop 1
	v_cndmask_b32_e64 v15, v12, v11, s[0:1]
	v_lshl_add_u64 v[10:11], v[6:7], 0, 2
	v_lshl_add_u64 v[12:13], v[6:7], 0, 1
	v_cmp_ne_u32_e64 s[0:1], 0, v15
	s_nop 1
	v_cndmask_b32_e64 v11, v13, v11, s[0:1]
	v_cndmask_b32_e64 v13, 0, -1, vcc
	v_cmp_le_u32_e32 vcc, s12, v8
	s_nop 1
	v_cndmask_b32_e64 v8, 0, -1, vcc
	v_cmp_eq_u32_e32 vcc, s13, v9
	s_nop 1
	v_cndmask_b32_e32 v8, v13, v8, vcc
	v_cmp_ne_u32_e32 vcc, 0, v8
	v_cndmask_b32_e64 v8, v12, v10, s[0:1]
	s_nop 0
	v_cndmask_b32_e32 v7, v7, v11, vcc
	v_cndmask_b32_e32 v6, v6, v8, vcc
                                        ; implicit-def: $vgpr8
.LBB47_3:
	s_andn2_saveexec_b64 s[0:1], s[16:17]
	s_cbranch_execz .LBB47_5
; %bb.4:
	v_cvt_f32_u32_e32 v6, s12
	s_sub_i32 s16, 0, s12
	v_rcp_iflag_f32_e32 v6, v6
	s_nop 0
	v_mul_f32_e32 v6, 0x4f7ffffe, v6
	v_cvt_u32_f32_e32 v6, v6
	v_mul_lo_u32 v7, s16, v6
	v_mul_hi_u32 v7, v6, v7
	v_add_u32_e32 v6, v6, v7
	v_mul_hi_u32 v6, v8, v6
	v_mul_lo_u32 v7, v6, s12
	v_sub_u32_e32 v7, v8, v7
	v_add_u32_e32 v9, 1, v6
	v_subrev_u32_e32 v8, s12, v7
	v_cmp_le_u32_e32 vcc, s12, v7
	s_nop 1
	v_cndmask_b32_e32 v7, v7, v8, vcc
	v_cndmask_b32_e32 v6, v6, v9, vcc
	v_add_u32_e32 v8, 1, v6
	v_cmp_le_u32_e32 vcc, s12, v7
	v_mov_b32_e32 v7, 0
	s_nop 0
	v_cndmask_b32_e32 v6, v6, v8, vcc
.LBB47_5:
	s_or_b64 exec, exec, s[0:1]
	v_lshl_add_u64 v[4:5], v[6:7], 0, v[4:5]
	v_lshl_add_u64 v[12:13], v[4:5], 0, 1
	v_cmp_lt_u64_e32 vcc, 3, v[12:13]
	s_mov_b64 s[16:17], -1
	s_and_saveexec_b64 s[0:1], vcc
	s_cbranch_execz .LBB47_9
; %bb.6:
	v_mad_u64_u32 v[8:9], s[20:21], s12, 3, v[2:3]
	v_mov_b32_e32 v10, v9
	s_mul_hi_u32 s19, s3, s33
	v_mad_u64_u32 v[6:7], s[20:21], s12, 2, v[2:3]
	v_mad_u64_u32 v[4:5], s[20:21], s12, 1, v[2:3]
	;; [unrolled: 1-line block ×3, first 2 shown]
	s_add_i32 s19, s19, s18
	s_lshl_b64 s[20:21], s[12:13], 2
	s_mul_i32 s28, s14, 3
	s_mul_i32 s18, s3, s33
	s_mul_hi_u32 s3, s14, 3
	s_add_u32 s28, s28, s2
	s_addc_u32 s3, s3, 0
	s_mul_i32 s3, s3, s33
	s_mul_hi_u32 s29, s28, s33
	s_add_i32 s29, s29, s3
	s_lshl_b64 s[30:31], s[14:15], 1
	s_mul_hi_u32 s17, s33, s2
	s_mul_i32 s16, s33, s2
	s_add_u32 s2, s30, s2
	v_lshl_add_u32 v7, s13, 1, v7
	v_add_u32_e32 v5, s13, v5
	v_mov_b32_e32 v9, v10
	s_addc_u32 s3, s31, 0
	v_and_b32_e32 v14, -4, v12
	v_mov_b32_e32 v15, v13
	s_mul_i32 s3, s3, s33
	s_mul_hi_u32 s15, s2, s33
	v_mov_b64_e32 v[10:11], v[8:9]
	s_mov_b32 s34, s8
	s_mov_b32 s35, s8
	;; [unrolled: 1-line block ×10, first 2 shown]
	s_mul_i32 s28, s28, s33
	v_lshl_add_u64 v[0:1], s[10:11], 0, v[0:1]
	s_add_i32 s3, s15, s3
	s_mul_i32 s2, s2, s33
	s_mov_b64 s[30:31], 0
	v_mov_b32_e32 v16, s6
	v_mov_b32_e32 v17, s7
	;; [unrolled: 1-line block ×8, first 2 shown]
	s_movk_i32 s15, 0xff
	v_mov_b64_e32 v[24:25], v[14:15]
	v_mov_b64_e32 v[8:9], v[6:7]
	;; [unrolled: 1-line block ×4, first 2 shown]
.LBB47_7:                               ; =>This Inner Loop Header: Depth=1
	v_mad_u64_u32 v[28:29], s[38:39], v6, s35, v[18:19]
	v_mad_u64_u32 v[26:27], s[38:39], v4, s34, v[16:17]
	v_lshlrev_b16_e32 v28, 8, v28
	v_mad_u64_u32 v[32:33], s[38:39], v10, s37, v[22:23]
	v_lshl_add_u64 v[24:25], v[24:25], 0, -4
	v_bitop3_b16 v26, v26, v28, s15 bitop3:0xec
	v_mad_u64_u32 v[30:31], s[38:39], v8, s36, v[20:21]
	v_lshl_add_u64 v[34:35], v[0:1], 0, s[16:17]
	v_lshlrev_b16_e32 v27, 8, v32
	v_cmp_eq_u64_e32 vcc, 0, v[24:25]
	v_and_b32_e32 v26, 0xffff, v26
	v_lshl_add_u64 v[36:37], v[0:1], 0, s[18:19]
	v_lshl_add_u64 v[38:39], v[0:1], 0, s[2:3]
	;; [unrolled: 1-line block ×8, first 2 shown]
	v_bitop3_b16 v27, v30, v27, s15 bitop3:0xec
	s_or_b64 s[30:31], vcc, s[30:31]
	global_store_byte v[34:35], v26, off
	v_lshrrev_b32_e32 v26, 8, v26
	v_lshrrev_b32_e32 v28, 8, v27
	global_store_byte v[36:37], v26, off
	global_store_byte v[38:39], v27, off
	;; [unrolled: 1-line block ×3, first 2 shown]
	s_andn2_b64 exec, exec, s[30:31]
	s_cbranch_execnz .LBB47_7
; %bb.8:
	s_or_b64 exec, exec, s[30:31]
	v_mad_u64_u32 v[2:3], s[2:3], v14, s12, v[2:3]
	v_mul_lo_u32 v0, v14, s13
	v_mul_lo_u32 v1, v15, s12
	v_cmp_ne_u64_e32 vcc, v[12:13], v[14:15]
	v_add3_u32 v3, v1, v3, v0
	s_orn2_b64 s[16:17], vcc, exec
.LBB47_9:
	s_or_b64 exec, exec, s[0:1]
	s_and_b64 exec, exec, s[16:17]
	s_cbranch_execz .LBB47_12
; %bb.10:
	v_mov_b64_e32 v[0:1], s[6:7]
	v_mad_u64_u32 v[0:1], s[0:1], v2, s8, v[0:1]
	s_mul_i32 s0, s9, s33
	s_mul_hi_u32 s1, s8, s33
	s_add_i32 s0, s1, s0
	s_mul_i32 s2, s8, s33
	v_mul_lo_u32 v4, v2, s9
	v_mul_lo_u32 v5, v3, s8
	s_mul_i32 s0, s0, s14
	s_mul_hi_u32 s1, s2, s14
	v_add3_u32 v1, v5, v1, v4
	s_add_i32 s1, s1, s0
	s_mul_i32 s0, s2, s14
	s_mov_b64 s[2:3], 0
.LBB47_11:                              ; =>This Inner Loop Header: Depth=1
	v_lshl_add_u64 v[4:5], s[10:11], 0, v[2:3]
	v_lshl_add_u64 v[2:3], v[2:3], 0, s[12:13]
	v_cmp_le_i64_e32 vcc, s[4:5], v[2:3]
	global_store_byte v[4:5], v0, off
	s_or_b64 s[2:3], vcc, s[2:3]
	v_lshl_add_u64 v[0:1], v[0:1], 0, s[0:1]
	s_andn2_b64 exec, exec, s[2:3]
	s_cbranch_execnz .LBB47_11
.LBB47_12:
	s_endpgm
	.section	.rodata,"a",@progbits
	.p2align	6, 0x0
	.amdhsa_kernel _ZN12_GLOBAL__N_141elementwise_kernel_with_index_grid_strideIlZZZN2at6native14range_cuda_outERKN3c106ScalarES6_S6_RNS1_6TensorEENKUlvE_clEvENKUlvE_clEvEUllE_EEvT_T0_PN15function_traitsISD_E11result_typeE
		.amdhsa_group_segment_fixed_size 0
		.amdhsa_private_segment_fixed_size 0
		.amdhsa_kernarg_size 288
		.amdhsa_user_sgpr_count 2
		.amdhsa_user_sgpr_dispatch_ptr 0
		.amdhsa_user_sgpr_queue_ptr 0
		.amdhsa_user_sgpr_kernarg_segment_ptr 1
		.amdhsa_user_sgpr_dispatch_id 0
		.amdhsa_user_sgpr_kernarg_preload_length 0
		.amdhsa_user_sgpr_kernarg_preload_offset 0
		.amdhsa_user_sgpr_private_segment_size 0
		.amdhsa_uses_dynamic_stack 0
		.amdhsa_enable_private_segment 0
		.amdhsa_system_sgpr_workgroup_id_x 1
		.amdhsa_system_sgpr_workgroup_id_y 0
		.amdhsa_system_sgpr_workgroup_id_z 0
		.amdhsa_system_sgpr_workgroup_info 0
		.amdhsa_system_vgpr_workitem_id 0
		.amdhsa_next_free_vgpr 42
		.amdhsa_next_free_sgpr 40
		.amdhsa_accum_offset 44
		.amdhsa_reserve_vcc 1
		.amdhsa_float_round_mode_32 0
		.amdhsa_float_round_mode_16_64 0
		.amdhsa_float_denorm_mode_32 3
		.amdhsa_float_denorm_mode_16_64 3
		.amdhsa_dx10_clamp 1
		.amdhsa_ieee_mode 1
		.amdhsa_fp16_overflow 0
		.amdhsa_tg_split 0
		.amdhsa_exception_fp_ieee_invalid_op 0
		.amdhsa_exception_fp_denorm_src 0
		.amdhsa_exception_fp_ieee_div_zero 0
		.amdhsa_exception_fp_ieee_overflow 0
		.amdhsa_exception_fp_ieee_underflow 0
		.amdhsa_exception_fp_ieee_inexact 0
		.amdhsa_exception_int_div_zero 0
	.end_amdhsa_kernel
	.section	.text._ZN12_GLOBAL__N_141elementwise_kernel_with_index_grid_strideIlZZZN2at6native14range_cuda_outERKN3c106ScalarES6_S6_RNS1_6TensorEENKUlvE_clEvENKUlvE_clEvEUllE_EEvT_T0_PN15function_traitsISD_E11result_typeE,"axG",@progbits,_ZN12_GLOBAL__N_141elementwise_kernel_with_index_grid_strideIlZZZN2at6native14range_cuda_outERKN3c106ScalarES6_S6_RNS1_6TensorEENKUlvE_clEvENKUlvE_clEvEUllE_EEvT_T0_PN15function_traitsISD_E11result_typeE,comdat
.Lfunc_end47:
	.size	_ZN12_GLOBAL__N_141elementwise_kernel_with_index_grid_strideIlZZZN2at6native14range_cuda_outERKN3c106ScalarES6_S6_RNS1_6TensorEENKUlvE_clEvENKUlvE_clEvEUllE_EEvT_T0_PN15function_traitsISD_E11result_typeE, .Lfunc_end47-_ZN12_GLOBAL__N_141elementwise_kernel_with_index_grid_strideIlZZZN2at6native14range_cuda_outERKN3c106ScalarES6_S6_RNS1_6TensorEENKUlvE_clEvENKUlvE_clEvEUllE_EEvT_T0_PN15function_traitsISD_E11result_typeE
                                        ; -- End function
	.set _ZN12_GLOBAL__N_141elementwise_kernel_with_index_grid_strideIlZZZN2at6native14range_cuda_outERKN3c106ScalarES6_S6_RNS1_6TensorEENKUlvE_clEvENKUlvE_clEvEUllE_EEvT_T0_PN15function_traitsISD_E11result_typeE.num_vgpr, 42
	.set _ZN12_GLOBAL__N_141elementwise_kernel_with_index_grid_strideIlZZZN2at6native14range_cuda_outERKN3c106ScalarES6_S6_RNS1_6TensorEENKUlvE_clEvENKUlvE_clEvEUllE_EEvT_T0_PN15function_traitsISD_E11result_typeE.num_agpr, 0
	.set _ZN12_GLOBAL__N_141elementwise_kernel_with_index_grid_strideIlZZZN2at6native14range_cuda_outERKN3c106ScalarES6_S6_RNS1_6TensorEENKUlvE_clEvENKUlvE_clEvEUllE_EEvT_T0_PN15function_traitsISD_E11result_typeE.numbered_sgpr, 40
	.set _ZN12_GLOBAL__N_141elementwise_kernel_with_index_grid_strideIlZZZN2at6native14range_cuda_outERKN3c106ScalarES6_S6_RNS1_6TensorEENKUlvE_clEvENKUlvE_clEvEUllE_EEvT_T0_PN15function_traitsISD_E11result_typeE.num_named_barrier, 0
	.set _ZN12_GLOBAL__N_141elementwise_kernel_with_index_grid_strideIlZZZN2at6native14range_cuda_outERKN3c106ScalarES6_S6_RNS1_6TensorEENKUlvE_clEvENKUlvE_clEvEUllE_EEvT_T0_PN15function_traitsISD_E11result_typeE.private_seg_size, 0
	.set _ZN12_GLOBAL__N_141elementwise_kernel_with_index_grid_strideIlZZZN2at6native14range_cuda_outERKN3c106ScalarES6_S6_RNS1_6TensorEENKUlvE_clEvENKUlvE_clEvEUllE_EEvT_T0_PN15function_traitsISD_E11result_typeE.uses_vcc, 1
	.set _ZN12_GLOBAL__N_141elementwise_kernel_with_index_grid_strideIlZZZN2at6native14range_cuda_outERKN3c106ScalarES6_S6_RNS1_6TensorEENKUlvE_clEvENKUlvE_clEvEUllE_EEvT_T0_PN15function_traitsISD_E11result_typeE.uses_flat_scratch, 0
	.set _ZN12_GLOBAL__N_141elementwise_kernel_with_index_grid_strideIlZZZN2at6native14range_cuda_outERKN3c106ScalarES6_S6_RNS1_6TensorEENKUlvE_clEvENKUlvE_clEvEUllE_EEvT_T0_PN15function_traitsISD_E11result_typeE.has_dyn_sized_stack, 0
	.set _ZN12_GLOBAL__N_141elementwise_kernel_with_index_grid_strideIlZZZN2at6native14range_cuda_outERKN3c106ScalarES6_S6_RNS1_6TensorEENKUlvE_clEvENKUlvE_clEvEUllE_EEvT_T0_PN15function_traitsISD_E11result_typeE.has_recursion, 0
	.set _ZN12_GLOBAL__N_141elementwise_kernel_with_index_grid_strideIlZZZN2at6native14range_cuda_outERKN3c106ScalarES6_S6_RNS1_6TensorEENKUlvE_clEvENKUlvE_clEvEUllE_EEvT_T0_PN15function_traitsISD_E11result_typeE.has_indirect_call, 0
	.section	.AMDGPU.csdata,"",@progbits
; Kernel info:
; codeLenInByte = 1560
; TotalNumSgprs: 46
; NumVgprs: 42
; NumAgprs: 0
; TotalNumVgprs: 42
; ScratchSize: 0
; MemoryBound: 0
; FloatMode: 240
; IeeeMode: 1
; LDSByteSize: 0 bytes/workgroup (compile time only)
; SGPRBlocks: 5
; VGPRBlocks: 5
; NumSGPRsForWavesPerEU: 46
; NumVGPRsForWavesPerEU: 42
; AccumOffset: 44
; Occupancy: 8
; WaveLimiterHint : 0
; COMPUTE_PGM_RSRC2:SCRATCH_EN: 0
; COMPUTE_PGM_RSRC2:USER_SGPR: 2
; COMPUTE_PGM_RSRC2:TRAP_HANDLER: 0
; COMPUTE_PGM_RSRC2:TGID_X_EN: 1
; COMPUTE_PGM_RSRC2:TGID_Y_EN: 0
; COMPUTE_PGM_RSRC2:TGID_Z_EN: 0
; COMPUTE_PGM_RSRC2:TIDIG_COMP_CNT: 0
; COMPUTE_PGM_RSRC3_GFX90A:ACCUM_OFFSET: 10
; COMPUTE_PGM_RSRC3_GFX90A:TG_SPLIT: 0
	.section	.text._ZN12_GLOBAL__N_141elementwise_kernel_with_index_grid_strideIiZZZN2at6native14range_cuda_outERKN3c106ScalarES6_S6_RNS1_6TensorEENKUlvE_clEvENKUlvE0_clEvEUllE_EEvT_T0_PN15function_traitsISD_E11result_typeE,"axG",@progbits,_ZN12_GLOBAL__N_141elementwise_kernel_with_index_grid_strideIiZZZN2at6native14range_cuda_outERKN3c106ScalarES6_S6_RNS1_6TensorEENKUlvE_clEvENKUlvE0_clEvEUllE_EEvT_T0_PN15function_traitsISD_E11result_typeE,comdat
	.globl	_ZN12_GLOBAL__N_141elementwise_kernel_with_index_grid_strideIiZZZN2at6native14range_cuda_outERKN3c106ScalarES6_S6_RNS1_6TensorEENKUlvE_clEvENKUlvE0_clEvEUllE_EEvT_T0_PN15function_traitsISD_E11result_typeE ; -- Begin function _ZN12_GLOBAL__N_141elementwise_kernel_with_index_grid_strideIiZZZN2at6native14range_cuda_outERKN3c106ScalarES6_S6_RNS1_6TensorEENKUlvE_clEvENKUlvE0_clEvEUllE_EEvT_T0_PN15function_traitsISD_E11result_typeE
	.p2align	8
	.type	_ZN12_GLOBAL__N_141elementwise_kernel_with_index_grid_strideIiZZZN2at6native14range_cuda_outERKN3c106ScalarES6_S6_RNS1_6TensorEENKUlvE_clEvENKUlvE0_clEvEUllE_EEvT_T0_PN15function_traitsISD_E11result_typeE,@function
_ZN12_GLOBAL__N_141elementwise_kernel_with_index_grid_strideIiZZZN2at6native14range_cuda_outERKN3c106ScalarES6_S6_RNS1_6TensorEENKUlvE_clEvENKUlvE0_clEvEUllE_EEvT_T0_PN15function_traitsISD_E11result_typeE: ; @_ZN12_GLOBAL__N_141elementwise_kernel_with_index_grid_strideIiZZZN2at6native14range_cuda_outERKN3c106ScalarES6_S6_RNS1_6TensorEENKUlvE_clEvENKUlvE0_clEvEUllE_EEvT_T0_PN15function_traitsISD_E11result_typeE
; %bb.0:
	s_load_dword s3, s[0:1], 0x2c
	s_load_dword s12, s[0:1], 0x0
	s_add_u32 s10, s0, 32
	s_addc_u32 s11, s1, 0
	s_waitcnt lgkmcnt(0)
	s_and_b32 s3, s3, 0xffff
	s_mul_i32 s4, s2, s3
	v_add_u32_e32 v2, s4, v0
	v_cmp_gt_i32_e32 vcc, s12, v2
	s_and_saveexec_b64 s[4:5], vcc
	s_cbranch_execz .LBB48_8
; %bb.1:
	s_load_dword s13, s[10:11], 0x0
	s_load_dwordx4 s[4:7], s[0:1], 0x8
	s_load_dwordx2 s[8:9], s[0:1], 0x18
	s_waitcnt lgkmcnt(0)
	s_mul_i32 s10, s13, s3
	v_cvt_f32_u32_e32 v1, s10
	s_add_i32 s0, s2, s13
	s_mul_i32 s0, s0, s3
	s_sub_i32 s2, 0, s10
	v_rcp_iflag_f32_e32 v1, v1
	v_add_u32_e32 v3, s0, v0
	v_mov_b32_e32 v4, s0
	v_max_i32_e32 v5, s12, v3
	v_mul_f32_e32 v1, 0x4f7ffffe, v1
	v_cvt_u32_f32_e32 v1, v1
	v_cmp_gt_i32_e32 vcc, s12, v3
	v_mul_lo_u32 v3, s2, v1
	s_nop 0
	v_addc_co_u32_e64 v0, s[0:1], v0, v4, vcc
	v_mul_hi_u32 v3, v1, v3
	v_sub_u32_e32 v0, v5, v0
	v_add_u32_e32 v1, v1, v3
	v_mul_hi_u32 v1, v0, v1
	v_mul_lo_u32 v3, v1, s10
	v_sub_u32_e32 v0, v0, v3
	v_add_u32_e32 v4, 1, v1
	v_cmp_le_u32_e64 s[0:1], s10, v0
	v_subrev_u32_e32 v3, s10, v0
	s_mov_b64 s[2:3], -1
	v_cndmask_b32_e64 v1, v1, v4, s[0:1]
	v_cndmask_b32_e64 v0, v0, v3, s[0:1]
	v_add_u32_e32 v3, 1, v1
	v_cmp_le_u32_e64 s[0:1], s10, v0
	s_nop 1
	v_cndmask_b32_e64 v0, v1, v3, s[0:1]
	v_addc_co_u32_e32 v14, vcc, 1, v0, vcc
	v_cmp_lt_u32_e32 vcc, 3, v14
	s_and_saveexec_b64 s[0:1], vcc
	s_cbranch_execz .LBB48_5
; %bb.2:
	v_add_u32_e32 v3, s10, v2
	v_mad_u64_u32 v[0:1], s[2:3], s10, 3, v[2:3]
	v_lshl_add_u32 v4, s10, 1, v2
	v_mov_b32_e32 v5, v0
	v_and_b32_e32 v15, -4, v14
	s_lshl_b32 s16, s10, 2
	v_mov_b64_e32 v[6:7], v[4:5]
	s_mov_b32 s11, s6
	s_mov_b32 s13, s6
	;; [unrolled: 1-line block ×7, first 2 shown]
	s_mov_b64 s[2:3], 0
	v_mov_b32_e32 v0, s4
	v_mov_b32_e32 v1, s5
	;; [unrolled: 1-line block ×8, first 2 shown]
	s_movk_i32 s20, 0xff
	v_mov_b32_e32 v16, v15
	v_mov_b64_e32 v[4:5], v[2:3]
.LBB48_3:                               ; =>This Inner Loop Header: Depth=1
	v_mad_u64_u32 v[28:29], s[22:23], s13, v5, v[8:9]
	v_mad_u64_u32 v[26:27], s[22:23], s11, v4, v[0:1]
	v_lshlrev_b16_e32 v17, 8, v28
	v_ashrrev_i32_e32 v25, 31, v4
	v_mov_b32_e32 v24, v4
	v_mad_u64_u32 v[32:33], s[22:23], s15, v7, v[12:13]
	v_add_u32_e32 v16, -4, v16
	v_bitop3_b16 v17, v26, v17, s20 bitop3:0xec
	v_ashrrev_i32_e32 v23, 31, v5
	v_mov_b32_e32 v22, v5
	v_mad_u64_u32 v[30:31], s[22:23], s14, v6, v[10:11]
	v_lshlrev_b16_e32 v3, 8, v32
	v_lshl_add_u64 v[24:25], s[8:9], 0, v[24:25]
	v_cmp_eq_u32_e32 vcc, 0, v16
	v_and_b32_e32 v17, 0xffff, v17
	v_ashrrev_i32_e32 v19, 31, v7
	v_mov_b32_e32 v18, v7
	v_ashrrev_i32_e32 v21, 31, v6
	v_mov_b32_e32 v20, v6
	v_add_u32_e32 v7, s19, v7
	v_add_u32_e32 v6, s18, v6
	;; [unrolled: 1-line block ×4, first 2 shown]
	v_lshl_add_u64 v[22:23], s[8:9], 0, v[22:23]
	v_bitop3_b16 v3, v30, v3, s20 bitop3:0xec
	s_or_b64 s[2:3], vcc, s[2:3]
	global_store_byte v[24:25], v17, off
	v_lshrrev_b32_e32 v17, 8, v17
	v_lshl_add_u64 v[20:21], s[8:9], 0, v[20:21]
	v_lshl_add_u64 v[18:19], s[8:9], 0, v[18:19]
	v_lshrrev_b32_e32 v26, 8, v3
	global_store_byte v[22:23], v17, off
	global_store_byte v[20:21], v3, off
	;; [unrolled: 1-line block ×3, first 2 shown]
	s_andn2_b64 exec, exec, s[2:3]
	s_cbranch_execnz .LBB48_3
; %bb.4:
	s_or_b64 exec, exec, s[2:3]
	v_mad_u64_u32 v[2:3], s[2:3], v15, s10, v[2:3]
	v_cmp_ne_u32_e32 vcc, v14, v15
	s_orn2_b64 s[2:3], vcc, exec
.LBB48_5:
	s_or_b64 exec, exec, s[0:1]
	s_and_b64 exec, exec, s[2:3]
	s_cbranch_execz .LBB48_8
; %bb.6:
	v_mov_b64_e32 v[0:1], s[4:5]
	s_ashr_i32 s11, s10, 31
	v_mad_u64_u32 v[0:1], s[0:1], s6, v2, v[0:1]
	v_ashrrev_i32_e32 v3, 31, v2
	s_mul_hi_u32 s0, s6, s10
	s_mul_i32 s1, s6, s11
	v_mul_lo_u32 v4, s7, v2
	v_mul_lo_u32 v5, s6, v3
	s_add_i32 s0, s0, s1
	s_mul_i32 s1, s7, s10
	v_add3_u32 v1, v4, v1, v5
	s_add_i32 s1, s0, s1
	s_mul_i32 s0, s6, s10
	s_mov_b64 s[2:3], 0
.LBB48_7:                               ; =>This Inner Loop Header: Depth=1
	v_lshl_add_u64 v[4:5], s[8:9], 0, v[2:3]
	v_lshl_add_u64 v[2:3], v[2:3], 0, s[10:11]
	v_cmp_le_i32_e32 vcc, s12, v2
	global_store_byte v[4:5], v0, off
	s_or_b64 s[2:3], vcc, s[2:3]
	v_lshl_add_u64 v[0:1], v[0:1], 0, s[0:1]
	s_andn2_b64 exec, exec, s[2:3]
	s_cbranch_execnz .LBB48_7
.LBB48_8:
	s_endpgm
	.section	.rodata,"a",@progbits
	.p2align	6, 0x0
	.amdhsa_kernel _ZN12_GLOBAL__N_141elementwise_kernel_with_index_grid_strideIiZZZN2at6native14range_cuda_outERKN3c106ScalarES6_S6_RNS1_6TensorEENKUlvE_clEvENKUlvE0_clEvEUllE_EEvT_T0_PN15function_traitsISD_E11result_typeE
		.amdhsa_group_segment_fixed_size 0
		.amdhsa_private_segment_fixed_size 0
		.amdhsa_kernarg_size 288
		.amdhsa_user_sgpr_count 2
		.amdhsa_user_sgpr_dispatch_ptr 0
		.amdhsa_user_sgpr_queue_ptr 0
		.amdhsa_user_sgpr_kernarg_segment_ptr 1
		.amdhsa_user_sgpr_dispatch_id 0
		.amdhsa_user_sgpr_kernarg_preload_length 0
		.amdhsa_user_sgpr_kernarg_preload_offset 0
		.amdhsa_user_sgpr_private_segment_size 0
		.amdhsa_uses_dynamic_stack 0
		.amdhsa_enable_private_segment 0
		.amdhsa_system_sgpr_workgroup_id_x 1
		.amdhsa_system_sgpr_workgroup_id_y 0
		.amdhsa_system_sgpr_workgroup_id_z 0
		.amdhsa_system_sgpr_workgroup_info 0
		.amdhsa_system_vgpr_workitem_id 0
		.amdhsa_next_free_vgpr 34
		.amdhsa_next_free_sgpr 24
		.amdhsa_accum_offset 36
		.amdhsa_reserve_vcc 1
		.amdhsa_float_round_mode_32 0
		.amdhsa_float_round_mode_16_64 0
		.amdhsa_float_denorm_mode_32 3
		.amdhsa_float_denorm_mode_16_64 3
		.amdhsa_dx10_clamp 1
		.amdhsa_ieee_mode 1
		.amdhsa_fp16_overflow 0
		.amdhsa_tg_split 0
		.amdhsa_exception_fp_ieee_invalid_op 0
		.amdhsa_exception_fp_denorm_src 0
		.amdhsa_exception_fp_ieee_div_zero 0
		.amdhsa_exception_fp_ieee_overflow 0
		.amdhsa_exception_fp_ieee_underflow 0
		.amdhsa_exception_fp_ieee_inexact 0
		.amdhsa_exception_int_div_zero 0
	.end_amdhsa_kernel
	.section	.text._ZN12_GLOBAL__N_141elementwise_kernel_with_index_grid_strideIiZZZN2at6native14range_cuda_outERKN3c106ScalarES6_S6_RNS1_6TensorEENKUlvE_clEvENKUlvE0_clEvEUllE_EEvT_T0_PN15function_traitsISD_E11result_typeE,"axG",@progbits,_ZN12_GLOBAL__N_141elementwise_kernel_with_index_grid_strideIiZZZN2at6native14range_cuda_outERKN3c106ScalarES6_S6_RNS1_6TensorEENKUlvE_clEvENKUlvE0_clEvEUllE_EEvT_T0_PN15function_traitsISD_E11result_typeE,comdat
.Lfunc_end48:
	.size	_ZN12_GLOBAL__N_141elementwise_kernel_with_index_grid_strideIiZZZN2at6native14range_cuda_outERKN3c106ScalarES6_S6_RNS1_6TensorEENKUlvE_clEvENKUlvE0_clEvEUllE_EEvT_T0_PN15function_traitsISD_E11result_typeE, .Lfunc_end48-_ZN12_GLOBAL__N_141elementwise_kernel_with_index_grid_strideIiZZZN2at6native14range_cuda_outERKN3c106ScalarES6_S6_RNS1_6TensorEENKUlvE_clEvENKUlvE0_clEvEUllE_EEvT_T0_PN15function_traitsISD_E11result_typeE
                                        ; -- End function
	.set _ZN12_GLOBAL__N_141elementwise_kernel_with_index_grid_strideIiZZZN2at6native14range_cuda_outERKN3c106ScalarES6_S6_RNS1_6TensorEENKUlvE_clEvENKUlvE0_clEvEUllE_EEvT_T0_PN15function_traitsISD_E11result_typeE.num_vgpr, 34
	.set _ZN12_GLOBAL__N_141elementwise_kernel_with_index_grid_strideIiZZZN2at6native14range_cuda_outERKN3c106ScalarES6_S6_RNS1_6TensorEENKUlvE_clEvENKUlvE0_clEvEUllE_EEvT_T0_PN15function_traitsISD_E11result_typeE.num_agpr, 0
	.set _ZN12_GLOBAL__N_141elementwise_kernel_with_index_grid_strideIiZZZN2at6native14range_cuda_outERKN3c106ScalarES6_S6_RNS1_6TensorEENKUlvE_clEvENKUlvE0_clEvEUllE_EEvT_T0_PN15function_traitsISD_E11result_typeE.numbered_sgpr, 24
	.set _ZN12_GLOBAL__N_141elementwise_kernel_with_index_grid_strideIiZZZN2at6native14range_cuda_outERKN3c106ScalarES6_S6_RNS1_6TensorEENKUlvE_clEvENKUlvE0_clEvEUllE_EEvT_T0_PN15function_traitsISD_E11result_typeE.num_named_barrier, 0
	.set _ZN12_GLOBAL__N_141elementwise_kernel_with_index_grid_strideIiZZZN2at6native14range_cuda_outERKN3c106ScalarES6_S6_RNS1_6TensorEENKUlvE_clEvENKUlvE0_clEvEUllE_EEvT_T0_PN15function_traitsISD_E11result_typeE.private_seg_size, 0
	.set _ZN12_GLOBAL__N_141elementwise_kernel_with_index_grid_strideIiZZZN2at6native14range_cuda_outERKN3c106ScalarES6_S6_RNS1_6TensorEENKUlvE_clEvENKUlvE0_clEvEUllE_EEvT_T0_PN15function_traitsISD_E11result_typeE.uses_vcc, 1
	.set _ZN12_GLOBAL__N_141elementwise_kernel_with_index_grid_strideIiZZZN2at6native14range_cuda_outERKN3c106ScalarES6_S6_RNS1_6TensorEENKUlvE_clEvENKUlvE0_clEvEUllE_EEvT_T0_PN15function_traitsISD_E11result_typeE.uses_flat_scratch, 0
	.set _ZN12_GLOBAL__N_141elementwise_kernel_with_index_grid_strideIiZZZN2at6native14range_cuda_outERKN3c106ScalarES6_S6_RNS1_6TensorEENKUlvE_clEvENKUlvE0_clEvEUllE_EEvT_T0_PN15function_traitsISD_E11result_typeE.has_dyn_sized_stack, 0
	.set _ZN12_GLOBAL__N_141elementwise_kernel_with_index_grid_strideIiZZZN2at6native14range_cuda_outERKN3c106ScalarES6_S6_RNS1_6TensorEENKUlvE_clEvENKUlvE0_clEvEUllE_EEvT_T0_PN15function_traitsISD_E11result_typeE.has_recursion, 0
	.set _ZN12_GLOBAL__N_141elementwise_kernel_with_index_grid_strideIiZZZN2at6native14range_cuda_outERKN3c106ScalarES6_S6_RNS1_6TensorEENKUlvE_clEvENKUlvE0_clEvEUllE_EEvT_T0_PN15function_traitsISD_E11result_typeE.has_indirect_call, 0
	.section	.AMDGPU.csdata,"",@progbits
; Kernel info:
; codeLenInByte = 740
; TotalNumSgprs: 30
; NumVgprs: 34
; NumAgprs: 0
; TotalNumVgprs: 34
; ScratchSize: 0
; MemoryBound: 0
; FloatMode: 240
; IeeeMode: 1
; LDSByteSize: 0 bytes/workgroup (compile time only)
; SGPRBlocks: 3
; VGPRBlocks: 4
; NumSGPRsForWavesPerEU: 30
; NumVGPRsForWavesPerEU: 34
; AccumOffset: 36
; Occupancy: 8
; WaveLimiterHint : 0
; COMPUTE_PGM_RSRC2:SCRATCH_EN: 0
; COMPUTE_PGM_RSRC2:USER_SGPR: 2
; COMPUTE_PGM_RSRC2:TRAP_HANDLER: 0
; COMPUTE_PGM_RSRC2:TGID_X_EN: 1
; COMPUTE_PGM_RSRC2:TGID_Y_EN: 0
; COMPUTE_PGM_RSRC2:TGID_Z_EN: 0
; COMPUTE_PGM_RSRC2:TIDIG_COMP_CNT: 0
; COMPUTE_PGM_RSRC3_GFX90A:ACCUM_OFFSET: 8
; COMPUTE_PGM_RSRC3_GFX90A:TG_SPLIT: 0
	.section	.text._ZN12_GLOBAL__N_141elementwise_kernel_with_index_grid_strideIlZZZN2at6native14range_cuda_outERKN3c106ScalarES6_S6_RNS1_6TensorEENKUlvE_clEvENKUlvE0_clEvEUllE_EEvT_T0_PN15function_traitsISD_E11result_typeE,"axG",@progbits,_ZN12_GLOBAL__N_141elementwise_kernel_with_index_grid_strideIlZZZN2at6native14range_cuda_outERKN3c106ScalarES6_S6_RNS1_6TensorEENKUlvE_clEvENKUlvE0_clEvEUllE_EEvT_T0_PN15function_traitsISD_E11result_typeE,comdat
	.globl	_ZN12_GLOBAL__N_141elementwise_kernel_with_index_grid_strideIlZZZN2at6native14range_cuda_outERKN3c106ScalarES6_S6_RNS1_6TensorEENKUlvE_clEvENKUlvE0_clEvEUllE_EEvT_T0_PN15function_traitsISD_E11result_typeE ; -- Begin function _ZN12_GLOBAL__N_141elementwise_kernel_with_index_grid_strideIlZZZN2at6native14range_cuda_outERKN3c106ScalarES6_S6_RNS1_6TensorEENKUlvE_clEvENKUlvE0_clEvEUllE_EEvT_T0_PN15function_traitsISD_E11result_typeE
	.p2align	8
	.type	_ZN12_GLOBAL__N_141elementwise_kernel_with_index_grid_strideIlZZZN2at6native14range_cuda_outERKN3c106ScalarES6_S6_RNS1_6TensorEENKUlvE_clEvENKUlvE0_clEvEUllE_EEvT_T0_PN15function_traitsISD_E11result_typeE,@function
_ZN12_GLOBAL__N_141elementwise_kernel_with_index_grid_strideIlZZZN2at6native14range_cuda_outERKN3c106ScalarES6_S6_RNS1_6TensorEENKUlvE_clEvENKUlvE0_clEvEUllE_EEvT_T0_PN15function_traitsISD_E11result_typeE: ; @_ZN12_GLOBAL__N_141elementwise_kernel_with_index_grid_strideIlZZZN2at6native14range_cuda_outERKN3c106ScalarES6_S6_RNS1_6TensorEENKUlvE_clEvENKUlvE0_clEvEUllE_EEvT_T0_PN15function_traitsISD_E11result_typeE
; %bb.0:
	s_load_dword s3, s[0:1], 0x2c
	s_load_dwordx8 s[4:11], s[0:1], 0x0
	s_add_u32 s0, s0, 32
	s_addc_u32 s1, s1, 0
	v_mov_b32_e32 v1, 0
	s_waitcnt lgkmcnt(0)
	s_and_b32 s33, s3, 0xffff
	v_mov_b32_e32 v2, s2
	v_mad_u64_u32 v[2:3], s[12:13], s33, v2, v[0:1]
	v_cmp_gt_i64_e32 vcc, s[4:5], v[2:3]
	s_and_saveexec_b64 s[12:13], vcc
	s_cbranch_execz .LBB49_12
; %bb.1:
	s_load_dword s14, s[0:1], 0x0
	v_mov_b32_e32 v4, s33
	s_mov_b32 s15, 0
	v_mov_b32_e32 v5, s15
	s_waitcnt lgkmcnt(0)
	s_add_u32 s3, s2, s14
	s_addc_u32 s18, 0, 0
	s_mul_i32 s18, s18, s33
	v_mad_u64_u32 v[6:7], s[0:1], s3, v4, v[0:1]
	v_add_u32_e32 v7, s18, v7
	v_mov_b32_e32 v4, s5
	v_cmp_gt_i64_e32 vcc, s[4:5], v[6:7]
	s_mul_hi_u32 s13, s33, s14
	s_mul_i32 s12, s33, s14
	v_cndmask_b32_e32 v9, v7, v4, vcc
	v_mov_b32_e32 v4, s4
	v_cndmask_b32_e32 v8, v6, v4, vcc
	v_cndmask_b32_e64 v4, 0, 1, vcc
	v_lshl_add_u64 v[6:7], v[6:7], 0, v[4:5]
	v_sub_co_u32_e32 v8, vcc, v8, v6
	v_mov_b32_e32 v6, v1
	s_nop 0
	v_subb_co_u32_e32 v9, vcc, v9, v7, vcc
	v_or_b32_e32 v7, s13, v9
	v_cmp_ne_u64_e32 vcc, 0, v[6:7]
                                        ; implicit-def: $vgpr6_vgpr7
	s_and_saveexec_b64 s[0:1], vcc
	s_xor_b64 s[16:17], exec, s[0:1]
	s_cbranch_execz .LBB49_3
; %bb.2:
	v_cvt_f32_u32_e32 v6, s12
	v_cvt_f32_u32_e32 v7, s13
	s_sub_u32 s19, 0, s12
	s_subb_u32 s20, 0, s13
	v_mov_b32_e32 v11, 0
	v_fmamk_f32 v6, v7, 0x4f800000, v6
	v_rcp_f32_e32 v6, v6
	s_nop 0
	v_mul_f32_e32 v6, 0x5f7ffffc, v6
	v_mul_f32_e32 v7, 0x2f800000, v6
	v_trunc_f32_e32 v7, v7
	v_fmamk_f32 v6, v7, 0xcf800000, v6
	v_cvt_u32_f32_e32 v7, v7
	v_cvt_u32_f32_e32 v6, v6
	v_readfirstlane_b32 s21, v7
	v_readfirstlane_b32 s0, v6
	s_mul_i32 s1, s19, s21
	s_mul_hi_u32 s23, s19, s0
	s_mul_i32 s22, s20, s0
	s_add_i32 s1, s23, s1
	s_mul_i32 s24, s19, s0
	s_add_i32 s1, s1, s22
	s_mul_i32 s23, s0, s1
	s_mul_hi_u32 s25, s0, s24
	s_mul_hi_u32 s22, s0, s1
	s_add_u32 s23, s25, s23
	s_addc_u32 s22, 0, s22
	s_mul_hi_u32 s26, s21, s24
	s_mul_i32 s24, s21, s24
	s_add_u32 s23, s23, s24
	s_mul_hi_u32 s25, s21, s1
	s_addc_u32 s22, s22, s26
	s_addc_u32 s23, s25, 0
	s_mul_i32 s1, s21, s1
	s_add_u32 s1, s22, s1
	s_addc_u32 s22, 0, s23
	s_add_u32 s23, s0, s1
	s_cselect_b64 s[0:1], -1, 0
	s_cmp_lg_u64 s[0:1], 0
	s_addc_u32 s21, s21, s22
	s_mul_i32 s0, s19, s21
	s_mul_hi_u32 s1, s19, s23
	s_add_i32 s0, s1, s0
	s_mul_i32 s20, s20, s23
	s_add_i32 s0, s0, s20
	s_mul_i32 s19, s19, s23
	s_mul_hi_u32 s20, s21, s19
	s_mul_i32 s22, s21, s19
	s_mul_i32 s25, s23, s0
	s_mul_hi_u32 s19, s23, s19
	s_mul_hi_u32 s24, s23, s0
	s_add_u32 s19, s19, s25
	s_addc_u32 s24, 0, s24
	s_add_u32 s19, s19, s22
	s_mul_hi_u32 s1, s21, s0
	s_addc_u32 s19, s24, s20
	s_addc_u32 s1, s1, 0
	s_mul_i32 s0, s21, s0
	s_add_u32 s0, s19, s0
	s_addc_u32 s19, 0, s1
	s_add_u32 s20, s23, s0
	s_cselect_b64 s[0:1], -1, 0
	s_cmp_lg_u64 s[0:1], 0
	s_addc_u32 s19, s21, s19
	v_mad_u64_u32 v[6:7], s[0:1], v8, s19, 0
	v_mul_hi_u32 v10, v8, s20
	v_lshl_add_u64 v[6:7], v[10:11], 0, v[6:7]
	v_mad_u64_u32 v[14:15], s[0:1], v9, s20, 0
	v_add_co_u32_e32 v6, vcc, v6, v14
	v_mad_u64_u32 v[12:13], s[0:1], v9, s19, 0
	s_nop 0
	v_addc_co_u32_e32 v10, vcc, v7, v15, vcc
	s_nop 1
	v_addc_co_u32_e32 v13, vcc, 0, v13, vcc
	v_lshl_add_u64 v[6:7], v[10:11], 0, v[12:13]
	v_mul_lo_u32 v12, s13, v6
	v_mul_lo_u32 v13, s12, v7
	v_mad_u64_u32 v[10:11], s[0:1], s12, v6, 0
	v_add3_u32 v14, v11, v13, v12
	v_sub_u32_e32 v11, v9, v14
	v_mov_b32_e32 v12, s13
	v_sub_co_u32_e32 v8, vcc, v8, v10
	s_nop 1
	v_subb_co_u32_e64 v10, s[0:1], v11, v12, vcc
	v_subrev_co_u32_e64 v11, s[0:1], s12, v8
	v_subb_co_u32_e32 v9, vcc, v9, v14, vcc
	s_nop 0
	v_subbrev_co_u32_e64 v10, s[0:1], 0, v10, s[0:1]
	v_cmp_le_u32_e64 s[0:1], s13, v10
	v_cmp_le_u32_e32 vcc, s13, v9
	s_nop 0
	v_cndmask_b32_e64 v12, 0, -1, s[0:1]
	v_cmp_le_u32_e64 s[0:1], s12, v11
	s_nop 1
	v_cndmask_b32_e64 v11, 0, -1, s[0:1]
	v_cmp_eq_u32_e64 s[0:1], s13, v10
	s_nop 1
	v_cndmask_b32_e64 v15, v12, v11, s[0:1]
	v_lshl_add_u64 v[10:11], v[6:7], 0, 2
	v_lshl_add_u64 v[12:13], v[6:7], 0, 1
	v_cmp_ne_u32_e64 s[0:1], 0, v15
	s_nop 1
	v_cndmask_b32_e64 v11, v13, v11, s[0:1]
	v_cndmask_b32_e64 v13, 0, -1, vcc
	v_cmp_le_u32_e32 vcc, s12, v8
	s_nop 1
	v_cndmask_b32_e64 v8, 0, -1, vcc
	v_cmp_eq_u32_e32 vcc, s13, v9
	s_nop 1
	v_cndmask_b32_e32 v8, v13, v8, vcc
	v_cmp_ne_u32_e32 vcc, 0, v8
	v_cndmask_b32_e64 v8, v12, v10, s[0:1]
	s_nop 0
	v_cndmask_b32_e32 v7, v7, v11, vcc
	v_cndmask_b32_e32 v6, v6, v8, vcc
                                        ; implicit-def: $vgpr8
.LBB49_3:
	s_andn2_saveexec_b64 s[0:1], s[16:17]
	s_cbranch_execz .LBB49_5
; %bb.4:
	v_cvt_f32_u32_e32 v6, s12
	s_sub_i32 s16, 0, s12
	v_rcp_iflag_f32_e32 v6, v6
	s_nop 0
	v_mul_f32_e32 v6, 0x4f7ffffe, v6
	v_cvt_u32_f32_e32 v6, v6
	v_mul_lo_u32 v7, s16, v6
	v_mul_hi_u32 v7, v6, v7
	v_add_u32_e32 v6, v6, v7
	v_mul_hi_u32 v6, v8, v6
	v_mul_lo_u32 v7, v6, s12
	v_sub_u32_e32 v7, v8, v7
	v_add_u32_e32 v9, 1, v6
	v_subrev_u32_e32 v8, s12, v7
	v_cmp_le_u32_e32 vcc, s12, v7
	s_nop 1
	v_cndmask_b32_e32 v7, v7, v8, vcc
	v_cndmask_b32_e32 v6, v6, v9, vcc
	v_add_u32_e32 v8, 1, v6
	v_cmp_le_u32_e32 vcc, s12, v7
	v_mov_b32_e32 v7, 0
	s_nop 0
	v_cndmask_b32_e32 v6, v6, v8, vcc
.LBB49_5:
	s_or_b64 exec, exec, s[0:1]
	v_lshl_add_u64 v[4:5], v[6:7], 0, v[4:5]
	v_lshl_add_u64 v[12:13], v[4:5], 0, 1
	v_cmp_lt_u64_e32 vcc, 3, v[12:13]
	s_mov_b64 s[16:17], -1
	s_and_saveexec_b64 s[0:1], vcc
	s_cbranch_execz .LBB49_9
; %bb.6:
	v_mad_u64_u32 v[8:9], s[20:21], s12, 3, v[2:3]
	v_mov_b32_e32 v10, v9
	s_mul_hi_u32 s19, s3, s33
	v_mad_u64_u32 v[6:7], s[20:21], s12, 2, v[2:3]
	v_mad_u64_u32 v[4:5], s[20:21], s12, 1, v[2:3]
	;; [unrolled: 1-line block ×3, first 2 shown]
	s_add_i32 s19, s19, s18
	s_lshl_b64 s[20:21], s[12:13], 2
	s_mul_i32 s28, s14, 3
	s_mul_i32 s18, s3, s33
	s_mul_hi_u32 s3, s14, 3
	s_add_u32 s28, s28, s2
	s_addc_u32 s3, s3, 0
	s_mul_i32 s3, s3, s33
	s_mul_hi_u32 s29, s28, s33
	s_add_i32 s29, s29, s3
	s_lshl_b64 s[30:31], s[14:15], 1
	s_mul_hi_u32 s17, s33, s2
	s_mul_i32 s16, s33, s2
	s_add_u32 s2, s30, s2
	v_lshl_add_u32 v7, s13, 1, v7
	v_add_u32_e32 v5, s13, v5
	v_mov_b32_e32 v9, v10
	s_addc_u32 s3, s31, 0
	v_and_b32_e32 v14, -4, v12
	v_mov_b32_e32 v15, v13
	s_mul_i32 s3, s3, s33
	s_mul_hi_u32 s15, s2, s33
	v_mov_b64_e32 v[10:11], v[8:9]
	s_mov_b32 s34, s8
	s_mov_b32 s35, s8
	;; [unrolled: 1-line block ×10, first 2 shown]
	s_mul_i32 s28, s28, s33
	v_lshl_add_u64 v[0:1], s[10:11], 0, v[0:1]
	s_add_i32 s3, s15, s3
	s_mul_i32 s2, s2, s33
	s_mov_b64 s[30:31], 0
	v_mov_b32_e32 v16, s6
	v_mov_b32_e32 v17, s7
	;; [unrolled: 1-line block ×8, first 2 shown]
	s_movk_i32 s15, 0xff
	v_mov_b64_e32 v[24:25], v[14:15]
	v_mov_b64_e32 v[8:9], v[6:7]
	v_mov_b64_e32 v[6:7], v[4:5]
	v_mov_b64_e32 v[4:5], v[2:3]
.LBB49_7:                               ; =>This Inner Loop Header: Depth=1
	v_mad_u64_u32 v[28:29], s[38:39], v6, s35, v[18:19]
	v_mad_u64_u32 v[26:27], s[38:39], v4, s34, v[16:17]
	v_lshlrev_b16_e32 v28, 8, v28
	v_mad_u64_u32 v[32:33], s[38:39], v10, s37, v[22:23]
	v_lshl_add_u64 v[24:25], v[24:25], 0, -4
	v_bitop3_b16 v26, v26, v28, s15 bitop3:0xec
	v_mad_u64_u32 v[30:31], s[38:39], v8, s36, v[20:21]
	v_lshl_add_u64 v[34:35], v[0:1], 0, s[16:17]
	v_lshlrev_b16_e32 v27, 8, v32
	v_cmp_eq_u64_e32 vcc, 0, v[24:25]
	v_and_b32_e32 v26, 0xffff, v26
	v_lshl_add_u64 v[36:37], v[0:1], 0, s[18:19]
	v_lshl_add_u64 v[38:39], v[0:1], 0, s[2:3]
	;; [unrolled: 1-line block ×8, first 2 shown]
	v_bitop3_b16 v27, v30, v27, s15 bitop3:0xec
	s_or_b64 s[30:31], vcc, s[30:31]
	global_store_byte v[34:35], v26, off
	v_lshrrev_b32_e32 v26, 8, v26
	v_lshrrev_b32_e32 v28, 8, v27
	global_store_byte v[36:37], v26, off
	global_store_byte v[38:39], v27, off
	;; [unrolled: 1-line block ×3, first 2 shown]
	s_andn2_b64 exec, exec, s[30:31]
	s_cbranch_execnz .LBB49_7
; %bb.8:
	s_or_b64 exec, exec, s[30:31]
	v_mad_u64_u32 v[2:3], s[2:3], v14, s12, v[2:3]
	v_mul_lo_u32 v0, v14, s13
	v_mul_lo_u32 v1, v15, s12
	v_cmp_ne_u64_e32 vcc, v[12:13], v[14:15]
	v_add3_u32 v3, v1, v3, v0
	s_orn2_b64 s[16:17], vcc, exec
.LBB49_9:
	s_or_b64 exec, exec, s[0:1]
	s_and_b64 exec, exec, s[16:17]
	s_cbranch_execz .LBB49_12
; %bb.10:
	v_mov_b64_e32 v[0:1], s[6:7]
	v_mad_u64_u32 v[0:1], s[0:1], v2, s8, v[0:1]
	s_mul_i32 s0, s9, s33
	s_mul_hi_u32 s1, s8, s33
	s_add_i32 s0, s1, s0
	s_mul_i32 s2, s8, s33
	v_mul_lo_u32 v4, v2, s9
	v_mul_lo_u32 v5, v3, s8
	s_mul_i32 s0, s0, s14
	s_mul_hi_u32 s1, s2, s14
	v_add3_u32 v1, v5, v1, v4
	s_add_i32 s1, s1, s0
	s_mul_i32 s0, s2, s14
	s_mov_b64 s[2:3], 0
.LBB49_11:                              ; =>This Inner Loop Header: Depth=1
	v_lshl_add_u64 v[4:5], s[10:11], 0, v[2:3]
	v_lshl_add_u64 v[2:3], v[2:3], 0, s[12:13]
	v_cmp_le_i64_e32 vcc, s[4:5], v[2:3]
	global_store_byte v[4:5], v0, off
	s_or_b64 s[2:3], vcc, s[2:3]
	v_lshl_add_u64 v[0:1], v[0:1], 0, s[0:1]
	s_andn2_b64 exec, exec, s[2:3]
	s_cbranch_execnz .LBB49_11
.LBB49_12:
	s_endpgm
	.section	.rodata,"a",@progbits
	.p2align	6, 0x0
	.amdhsa_kernel _ZN12_GLOBAL__N_141elementwise_kernel_with_index_grid_strideIlZZZN2at6native14range_cuda_outERKN3c106ScalarES6_S6_RNS1_6TensorEENKUlvE_clEvENKUlvE0_clEvEUllE_EEvT_T0_PN15function_traitsISD_E11result_typeE
		.amdhsa_group_segment_fixed_size 0
		.amdhsa_private_segment_fixed_size 0
		.amdhsa_kernarg_size 288
		.amdhsa_user_sgpr_count 2
		.amdhsa_user_sgpr_dispatch_ptr 0
		.amdhsa_user_sgpr_queue_ptr 0
		.amdhsa_user_sgpr_kernarg_segment_ptr 1
		.amdhsa_user_sgpr_dispatch_id 0
		.amdhsa_user_sgpr_kernarg_preload_length 0
		.amdhsa_user_sgpr_kernarg_preload_offset 0
		.amdhsa_user_sgpr_private_segment_size 0
		.amdhsa_uses_dynamic_stack 0
		.amdhsa_enable_private_segment 0
		.amdhsa_system_sgpr_workgroup_id_x 1
		.amdhsa_system_sgpr_workgroup_id_y 0
		.amdhsa_system_sgpr_workgroup_id_z 0
		.amdhsa_system_sgpr_workgroup_info 0
		.amdhsa_system_vgpr_workitem_id 0
		.amdhsa_next_free_vgpr 42
		.amdhsa_next_free_sgpr 40
		.amdhsa_accum_offset 44
		.amdhsa_reserve_vcc 1
		.amdhsa_float_round_mode_32 0
		.amdhsa_float_round_mode_16_64 0
		.amdhsa_float_denorm_mode_32 3
		.amdhsa_float_denorm_mode_16_64 3
		.amdhsa_dx10_clamp 1
		.amdhsa_ieee_mode 1
		.amdhsa_fp16_overflow 0
		.amdhsa_tg_split 0
		.amdhsa_exception_fp_ieee_invalid_op 0
		.amdhsa_exception_fp_denorm_src 0
		.amdhsa_exception_fp_ieee_div_zero 0
		.amdhsa_exception_fp_ieee_overflow 0
		.amdhsa_exception_fp_ieee_underflow 0
		.amdhsa_exception_fp_ieee_inexact 0
		.amdhsa_exception_int_div_zero 0
	.end_amdhsa_kernel
	.section	.text._ZN12_GLOBAL__N_141elementwise_kernel_with_index_grid_strideIlZZZN2at6native14range_cuda_outERKN3c106ScalarES6_S6_RNS1_6TensorEENKUlvE_clEvENKUlvE0_clEvEUllE_EEvT_T0_PN15function_traitsISD_E11result_typeE,"axG",@progbits,_ZN12_GLOBAL__N_141elementwise_kernel_with_index_grid_strideIlZZZN2at6native14range_cuda_outERKN3c106ScalarES6_S6_RNS1_6TensorEENKUlvE_clEvENKUlvE0_clEvEUllE_EEvT_T0_PN15function_traitsISD_E11result_typeE,comdat
.Lfunc_end49:
	.size	_ZN12_GLOBAL__N_141elementwise_kernel_with_index_grid_strideIlZZZN2at6native14range_cuda_outERKN3c106ScalarES6_S6_RNS1_6TensorEENKUlvE_clEvENKUlvE0_clEvEUllE_EEvT_T0_PN15function_traitsISD_E11result_typeE, .Lfunc_end49-_ZN12_GLOBAL__N_141elementwise_kernel_with_index_grid_strideIlZZZN2at6native14range_cuda_outERKN3c106ScalarES6_S6_RNS1_6TensorEENKUlvE_clEvENKUlvE0_clEvEUllE_EEvT_T0_PN15function_traitsISD_E11result_typeE
                                        ; -- End function
	.set _ZN12_GLOBAL__N_141elementwise_kernel_with_index_grid_strideIlZZZN2at6native14range_cuda_outERKN3c106ScalarES6_S6_RNS1_6TensorEENKUlvE_clEvENKUlvE0_clEvEUllE_EEvT_T0_PN15function_traitsISD_E11result_typeE.num_vgpr, 42
	.set _ZN12_GLOBAL__N_141elementwise_kernel_with_index_grid_strideIlZZZN2at6native14range_cuda_outERKN3c106ScalarES6_S6_RNS1_6TensorEENKUlvE_clEvENKUlvE0_clEvEUllE_EEvT_T0_PN15function_traitsISD_E11result_typeE.num_agpr, 0
	.set _ZN12_GLOBAL__N_141elementwise_kernel_with_index_grid_strideIlZZZN2at6native14range_cuda_outERKN3c106ScalarES6_S6_RNS1_6TensorEENKUlvE_clEvENKUlvE0_clEvEUllE_EEvT_T0_PN15function_traitsISD_E11result_typeE.numbered_sgpr, 40
	.set _ZN12_GLOBAL__N_141elementwise_kernel_with_index_grid_strideIlZZZN2at6native14range_cuda_outERKN3c106ScalarES6_S6_RNS1_6TensorEENKUlvE_clEvENKUlvE0_clEvEUllE_EEvT_T0_PN15function_traitsISD_E11result_typeE.num_named_barrier, 0
	.set _ZN12_GLOBAL__N_141elementwise_kernel_with_index_grid_strideIlZZZN2at6native14range_cuda_outERKN3c106ScalarES6_S6_RNS1_6TensorEENKUlvE_clEvENKUlvE0_clEvEUllE_EEvT_T0_PN15function_traitsISD_E11result_typeE.private_seg_size, 0
	.set _ZN12_GLOBAL__N_141elementwise_kernel_with_index_grid_strideIlZZZN2at6native14range_cuda_outERKN3c106ScalarES6_S6_RNS1_6TensorEENKUlvE_clEvENKUlvE0_clEvEUllE_EEvT_T0_PN15function_traitsISD_E11result_typeE.uses_vcc, 1
	.set _ZN12_GLOBAL__N_141elementwise_kernel_with_index_grid_strideIlZZZN2at6native14range_cuda_outERKN3c106ScalarES6_S6_RNS1_6TensorEENKUlvE_clEvENKUlvE0_clEvEUllE_EEvT_T0_PN15function_traitsISD_E11result_typeE.uses_flat_scratch, 0
	.set _ZN12_GLOBAL__N_141elementwise_kernel_with_index_grid_strideIlZZZN2at6native14range_cuda_outERKN3c106ScalarES6_S6_RNS1_6TensorEENKUlvE_clEvENKUlvE0_clEvEUllE_EEvT_T0_PN15function_traitsISD_E11result_typeE.has_dyn_sized_stack, 0
	.set _ZN12_GLOBAL__N_141elementwise_kernel_with_index_grid_strideIlZZZN2at6native14range_cuda_outERKN3c106ScalarES6_S6_RNS1_6TensorEENKUlvE_clEvENKUlvE0_clEvEUllE_EEvT_T0_PN15function_traitsISD_E11result_typeE.has_recursion, 0
	.set _ZN12_GLOBAL__N_141elementwise_kernel_with_index_grid_strideIlZZZN2at6native14range_cuda_outERKN3c106ScalarES6_S6_RNS1_6TensorEENKUlvE_clEvENKUlvE0_clEvEUllE_EEvT_T0_PN15function_traitsISD_E11result_typeE.has_indirect_call, 0
	.section	.AMDGPU.csdata,"",@progbits
; Kernel info:
; codeLenInByte = 1560
; TotalNumSgprs: 46
; NumVgprs: 42
; NumAgprs: 0
; TotalNumVgprs: 42
; ScratchSize: 0
; MemoryBound: 0
; FloatMode: 240
; IeeeMode: 1
; LDSByteSize: 0 bytes/workgroup (compile time only)
; SGPRBlocks: 5
; VGPRBlocks: 5
; NumSGPRsForWavesPerEU: 46
; NumVGPRsForWavesPerEU: 42
; AccumOffset: 44
; Occupancy: 8
; WaveLimiterHint : 0
; COMPUTE_PGM_RSRC2:SCRATCH_EN: 0
; COMPUTE_PGM_RSRC2:USER_SGPR: 2
; COMPUTE_PGM_RSRC2:TRAP_HANDLER: 0
; COMPUTE_PGM_RSRC2:TGID_X_EN: 1
; COMPUTE_PGM_RSRC2:TGID_Y_EN: 0
; COMPUTE_PGM_RSRC2:TGID_Z_EN: 0
; COMPUTE_PGM_RSRC2:TIDIG_COMP_CNT: 0
; COMPUTE_PGM_RSRC3_GFX90A:ACCUM_OFFSET: 10
; COMPUTE_PGM_RSRC3_GFX90A:TG_SPLIT: 0
	.section	.text._ZN12_GLOBAL__N_141elementwise_kernel_with_index_grid_strideIiZZZN2at6native14range_cuda_outERKN3c106ScalarES6_S6_RNS1_6TensorEENKUlvE_clEvENKUlvE1_clEvEUllE_EEvT_T0_PN15function_traitsISD_E11result_typeE,"axG",@progbits,_ZN12_GLOBAL__N_141elementwise_kernel_with_index_grid_strideIiZZZN2at6native14range_cuda_outERKN3c106ScalarES6_S6_RNS1_6TensorEENKUlvE_clEvENKUlvE1_clEvEUllE_EEvT_T0_PN15function_traitsISD_E11result_typeE,comdat
	.globl	_ZN12_GLOBAL__N_141elementwise_kernel_with_index_grid_strideIiZZZN2at6native14range_cuda_outERKN3c106ScalarES6_S6_RNS1_6TensorEENKUlvE_clEvENKUlvE1_clEvEUllE_EEvT_T0_PN15function_traitsISD_E11result_typeE ; -- Begin function _ZN12_GLOBAL__N_141elementwise_kernel_with_index_grid_strideIiZZZN2at6native14range_cuda_outERKN3c106ScalarES6_S6_RNS1_6TensorEENKUlvE_clEvENKUlvE1_clEvEUllE_EEvT_T0_PN15function_traitsISD_E11result_typeE
	.p2align	8
	.type	_ZN12_GLOBAL__N_141elementwise_kernel_with_index_grid_strideIiZZZN2at6native14range_cuda_outERKN3c106ScalarES6_S6_RNS1_6TensorEENKUlvE_clEvENKUlvE1_clEvEUllE_EEvT_T0_PN15function_traitsISD_E11result_typeE,@function
_ZN12_GLOBAL__N_141elementwise_kernel_with_index_grid_strideIiZZZN2at6native14range_cuda_outERKN3c106ScalarES6_S6_RNS1_6TensorEENKUlvE_clEvENKUlvE1_clEvEUllE_EEvT_T0_PN15function_traitsISD_E11result_typeE: ; @_ZN12_GLOBAL__N_141elementwise_kernel_with_index_grid_strideIiZZZN2at6native14range_cuda_outERKN3c106ScalarES6_S6_RNS1_6TensorEENKUlvE_clEvENKUlvE1_clEvEUllE_EEvT_T0_PN15function_traitsISD_E11result_typeE
; %bb.0:
	s_load_dword s3, s[0:1], 0x2c
	s_load_dword s12, s[0:1], 0x0
	s_add_u32 s8, s0, 32
	s_addc_u32 s9, s1, 0
	s_waitcnt lgkmcnt(0)
	s_and_b32 s3, s3, 0xffff
	s_mul_i32 s4, s2, s3
	v_add_u32_e32 v2, s4, v0
	v_cmp_gt_i32_e32 vcc, s12, v2
	s_and_saveexec_b64 s[4:5], vcc
	s_cbranch_execz .LBB50_8
; %bb.1:
	s_load_dword s13, s[8:9], 0x0
	s_load_dwordx4 s[4:7], s[0:1], 0x8
	s_load_dwordx2 s[10:11], s[0:1], 0x18
	s_waitcnt lgkmcnt(0)
	s_mul_i32 s8, s13, s3
	v_cvt_f32_u32_e32 v1, s8
	s_add_i32 s0, s2, s13
	s_mul_i32 s0, s0, s3
	s_sub_i32 s2, 0, s8
	v_rcp_iflag_f32_e32 v1, v1
	v_add_u32_e32 v3, s0, v0
	v_mov_b32_e32 v4, s0
	v_max_i32_e32 v5, s12, v3
	v_mul_f32_e32 v1, 0x4f7ffffe, v1
	v_cvt_u32_f32_e32 v1, v1
	v_cmp_gt_i32_e32 vcc, s12, v3
	v_mul_lo_u32 v3, s2, v1
	s_nop 0
	v_addc_co_u32_e64 v0, s[0:1], v0, v4, vcc
	v_mul_hi_u32 v3, v1, v3
	v_sub_u32_e32 v0, v5, v0
	v_add_u32_e32 v1, v1, v3
	v_mul_hi_u32 v1, v0, v1
	v_mul_lo_u32 v3, v1, s8
	v_sub_u32_e32 v0, v0, v3
	v_add_u32_e32 v4, 1, v1
	v_cmp_le_u32_e64 s[0:1], s8, v0
	v_subrev_u32_e32 v3, s8, v0
	s_mov_b64 s[2:3], -1
	v_cndmask_b32_e64 v1, v1, v4, s[0:1]
	v_cndmask_b32_e64 v0, v0, v3, s[0:1]
	v_add_u32_e32 v3, 1, v1
	v_cmp_le_u32_e64 s[0:1], s8, v0
	s_nop 1
	v_cndmask_b32_e64 v0, v1, v3, s[0:1]
	v_addc_co_u32_e32 v4, vcc, 1, v0, vcc
	v_cmp_lt_u32_e32 vcc, 1, v4
	s_and_saveexec_b64 s[0:1], vcc
	s_cbranch_execz .LBB50_5
; %bb.2:
	v_and_b32_e32 v5, -2, v4
	v_add_u32_e32 v3, s8, v2
	s_lshl_b32 s14, s8, 1
	s_mov_b32 s5, s6
	s_mov_b32 s7, s6
	;; [unrolled: 1-line block ×5, first 2 shown]
	s_mov_b64 s[2:3], 0
	v_mov_b32_e32 v6, v5
	v_mov_b64_e32 v[0:1], v[2:3]
.LBB50_3:                               ; =>This Inner Loop Header: Depth=1
	v_add_u32_e32 v6, -2, v6
	v_ashrrev_i32_e32 v9, 31, v1
	v_mov_b32_e32 v8, v1
	v_ashrrev_i32_e32 v11, 31, v0
	v_mov_b32_e32 v10, v0
	v_mul_lo_u32 v3, s5, v0
	v_mul_lo_u32 v7, s7, v1
	v_cmp_eq_u32_e32 vcc, 0, v6
	v_add_u32_e32 v1, s15, v1
	v_add_u32_e32 v0, s14, v0
	v_add_u32_e32 v7, s13, v7
	v_add_u32_e32 v3, s9, v3
	v_lshl_add_u64 v[10:11], v[10:11], 2, s[10:11]
	v_lshl_add_u64 v[8:9], v[8:9], 2, s[10:11]
	s_or_b64 s[2:3], vcc, s[2:3]
	global_store_dword v[10:11], v3, off
	global_store_dword v[8:9], v7, off
	s_andn2_b64 exec, exec, s[2:3]
	s_cbranch_execnz .LBB50_3
; %bb.4:
	s_or_b64 exec, exec, s[2:3]
	v_mad_u64_u32 v[2:3], s[2:3], v5, s8, v[2:3]
	v_cmp_ne_u32_e32 vcc, v4, v5
	s_orn2_b64 s[2:3], vcc, exec
.LBB50_5:
	s_or_b64 exec, exec, s[0:1]
	s_and_b64 exec, exec, s[2:3]
	s_cbranch_execz .LBB50_8
; %bb.6:
	v_ashrrev_i32_e32 v3, 31, v2
	v_lshl_add_u64 v[0:1], v[2:3], 2, s[10:11]
	s_ashr_i32 s9, s8, 31
	v_mul_lo_u32 v3, v2, s6
	s_lshl_b64 s[0:1], s[8:9], 2
	v_add_u32_e32 v3, s4, v3
	s_mul_i32 s4, s8, s6
	s_mov_b64 s[2:3], 0
.LBB50_7:                               ; =>This Inner Loop Header: Depth=1
	v_add_u32_e32 v2, s8, v2
	v_cmp_le_i32_e32 vcc, s12, v2
	global_store_dword v[0:1], v3, off
	v_lshl_add_u64 v[0:1], v[0:1], 0, s[0:1]
	s_or_b64 s[2:3], vcc, s[2:3]
	v_add_u32_e32 v3, s4, v3
	s_andn2_b64 exec, exec, s[2:3]
	s_cbranch_execnz .LBB50_7
.LBB50_8:
	s_endpgm
	.section	.rodata,"a",@progbits
	.p2align	6, 0x0
	.amdhsa_kernel _ZN12_GLOBAL__N_141elementwise_kernel_with_index_grid_strideIiZZZN2at6native14range_cuda_outERKN3c106ScalarES6_S6_RNS1_6TensorEENKUlvE_clEvENKUlvE1_clEvEUllE_EEvT_T0_PN15function_traitsISD_E11result_typeE
		.amdhsa_group_segment_fixed_size 0
		.amdhsa_private_segment_fixed_size 0
		.amdhsa_kernarg_size 288
		.amdhsa_user_sgpr_count 2
		.amdhsa_user_sgpr_dispatch_ptr 0
		.amdhsa_user_sgpr_queue_ptr 0
		.amdhsa_user_sgpr_kernarg_segment_ptr 1
		.amdhsa_user_sgpr_dispatch_id 0
		.amdhsa_user_sgpr_kernarg_preload_length 0
		.amdhsa_user_sgpr_kernarg_preload_offset 0
		.amdhsa_user_sgpr_private_segment_size 0
		.amdhsa_uses_dynamic_stack 0
		.amdhsa_enable_private_segment 0
		.amdhsa_system_sgpr_workgroup_id_x 1
		.amdhsa_system_sgpr_workgroup_id_y 0
		.amdhsa_system_sgpr_workgroup_id_z 0
		.amdhsa_system_sgpr_workgroup_info 0
		.amdhsa_system_vgpr_workitem_id 0
		.amdhsa_next_free_vgpr 12
		.amdhsa_next_free_sgpr 16
		.amdhsa_accum_offset 12
		.amdhsa_reserve_vcc 1
		.amdhsa_float_round_mode_32 0
		.amdhsa_float_round_mode_16_64 0
		.amdhsa_float_denorm_mode_32 3
		.amdhsa_float_denorm_mode_16_64 3
		.amdhsa_dx10_clamp 1
		.amdhsa_ieee_mode 1
		.amdhsa_fp16_overflow 0
		.amdhsa_tg_split 0
		.amdhsa_exception_fp_ieee_invalid_op 0
		.amdhsa_exception_fp_denorm_src 0
		.amdhsa_exception_fp_ieee_div_zero 0
		.amdhsa_exception_fp_ieee_overflow 0
		.amdhsa_exception_fp_ieee_underflow 0
		.amdhsa_exception_fp_ieee_inexact 0
		.amdhsa_exception_int_div_zero 0
	.end_amdhsa_kernel
	.section	.text._ZN12_GLOBAL__N_141elementwise_kernel_with_index_grid_strideIiZZZN2at6native14range_cuda_outERKN3c106ScalarES6_S6_RNS1_6TensorEENKUlvE_clEvENKUlvE1_clEvEUllE_EEvT_T0_PN15function_traitsISD_E11result_typeE,"axG",@progbits,_ZN12_GLOBAL__N_141elementwise_kernel_with_index_grid_strideIiZZZN2at6native14range_cuda_outERKN3c106ScalarES6_S6_RNS1_6TensorEENKUlvE_clEvENKUlvE1_clEvEUllE_EEvT_T0_PN15function_traitsISD_E11result_typeE,comdat
.Lfunc_end50:
	.size	_ZN12_GLOBAL__N_141elementwise_kernel_with_index_grid_strideIiZZZN2at6native14range_cuda_outERKN3c106ScalarES6_S6_RNS1_6TensorEENKUlvE_clEvENKUlvE1_clEvEUllE_EEvT_T0_PN15function_traitsISD_E11result_typeE, .Lfunc_end50-_ZN12_GLOBAL__N_141elementwise_kernel_with_index_grid_strideIiZZZN2at6native14range_cuda_outERKN3c106ScalarES6_S6_RNS1_6TensorEENKUlvE_clEvENKUlvE1_clEvEUllE_EEvT_T0_PN15function_traitsISD_E11result_typeE
                                        ; -- End function
	.set _ZN12_GLOBAL__N_141elementwise_kernel_with_index_grid_strideIiZZZN2at6native14range_cuda_outERKN3c106ScalarES6_S6_RNS1_6TensorEENKUlvE_clEvENKUlvE1_clEvEUllE_EEvT_T0_PN15function_traitsISD_E11result_typeE.num_vgpr, 12
	.set _ZN12_GLOBAL__N_141elementwise_kernel_with_index_grid_strideIiZZZN2at6native14range_cuda_outERKN3c106ScalarES6_S6_RNS1_6TensorEENKUlvE_clEvENKUlvE1_clEvEUllE_EEvT_T0_PN15function_traitsISD_E11result_typeE.num_agpr, 0
	.set _ZN12_GLOBAL__N_141elementwise_kernel_with_index_grid_strideIiZZZN2at6native14range_cuda_outERKN3c106ScalarES6_S6_RNS1_6TensorEENKUlvE_clEvENKUlvE1_clEvEUllE_EEvT_T0_PN15function_traitsISD_E11result_typeE.numbered_sgpr, 16
	.set _ZN12_GLOBAL__N_141elementwise_kernel_with_index_grid_strideIiZZZN2at6native14range_cuda_outERKN3c106ScalarES6_S6_RNS1_6TensorEENKUlvE_clEvENKUlvE1_clEvEUllE_EEvT_T0_PN15function_traitsISD_E11result_typeE.num_named_barrier, 0
	.set _ZN12_GLOBAL__N_141elementwise_kernel_with_index_grid_strideIiZZZN2at6native14range_cuda_outERKN3c106ScalarES6_S6_RNS1_6TensorEENKUlvE_clEvENKUlvE1_clEvEUllE_EEvT_T0_PN15function_traitsISD_E11result_typeE.private_seg_size, 0
	.set _ZN12_GLOBAL__N_141elementwise_kernel_with_index_grid_strideIiZZZN2at6native14range_cuda_outERKN3c106ScalarES6_S6_RNS1_6TensorEENKUlvE_clEvENKUlvE1_clEvEUllE_EEvT_T0_PN15function_traitsISD_E11result_typeE.uses_vcc, 1
	.set _ZN12_GLOBAL__N_141elementwise_kernel_with_index_grid_strideIiZZZN2at6native14range_cuda_outERKN3c106ScalarES6_S6_RNS1_6TensorEENKUlvE_clEvENKUlvE1_clEvEUllE_EEvT_T0_PN15function_traitsISD_E11result_typeE.uses_flat_scratch, 0
	.set _ZN12_GLOBAL__N_141elementwise_kernel_with_index_grid_strideIiZZZN2at6native14range_cuda_outERKN3c106ScalarES6_S6_RNS1_6TensorEENKUlvE_clEvENKUlvE1_clEvEUllE_EEvT_T0_PN15function_traitsISD_E11result_typeE.has_dyn_sized_stack, 0
	.set _ZN12_GLOBAL__N_141elementwise_kernel_with_index_grid_strideIiZZZN2at6native14range_cuda_outERKN3c106ScalarES6_S6_RNS1_6TensorEENKUlvE_clEvENKUlvE1_clEvEUllE_EEvT_T0_PN15function_traitsISD_E11result_typeE.has_recursion, 0
	.set _ZN12_GLOBAL__N_141elementwise_kernel_with_index_grid_strideIiZZZN2at6native14range_cuda_outERKN3c106ScalarES6_S6_RNS1_6TensorEENKUlvE_clEvENKUlvE1_clEvEUllE_EEvT_T0_PN15function_traitsISD_E11result_typeE.has_indirect_call, 0
	.section	.AMDGPU.csdata,"",@progbits
; Kernel info:
; codeLenInByte = 528
; TotalNumSgprs: 22
; NumVgprs: 12
; NumAgprs: 0
; TotalNumVgprs: 12
; ScratchSize: 0
; MemoryBound: 0
; FloatMode: 240
; IeeeMode: 1
; LDSByteSize: 0 bytes/workgroup (compile time only)
; SGPRBlocks: 2
; VGPRBlocks: 1
; NumSGPRsForWavesPerEU: 22
; NumVGPRsForWavesPerEU: 12
; AccumOffset: 12
; Occupancy: 8
; WaveLimiterHint : 0
; COMPUTE_PGM_RSRC2:SCRATCH_EN: 0
; COMPUTE_PGM_RSRC2:USER_SGPR: 2
; COMPUTE_PGM_RSRC2:TRAP_HANDLER: 0
; COMPUTE_PGM_RSRC2:TGID_X_EN: 1
; COMPUTE_PGM_RSRC2:TGID_Y_EN: 0
; COMPUTE_PGM_RSRC2:TGID_Z_EN: 0
; COMPUTE_PGM_RSRC2:TIDIG_COMP_CNT: 0
; COMPUTE_PGM_RSRC3_GFX90A:ACCUM_OFFSET: 2
; COMPUTE_PGM_RSRC3_GFX90A:TG_SPLIT: 0
	.section	.text._ZN12_GLOBAL__N_141elementwise_kernel_with_index_grid_strideIlZZZN2at6native14range_cuda_outERKN3c106ScalarES6_S6_RNS1_6TensorEENKUlvE_clEvENKUlvE1_clEvEUllE_EEvT_T0_PN15function_traitsISD_E11result_typeE,"axG",@progbits,_ZN12_GLOBAL__N_141elementwise_kernel_with_index_grid_strideIlZZZN2at6native14range_cuda_outERKN3c106ScalarES6_S6_RNS1_6TensorEENKUlvE_clEvENKUlvE1_clEvEUllE_EEvT_T0_PN15function_traitsISD_E11result_typeE,comdat
	.globl	_ZN12_GLOBAL__N_141elementwise_kernel_with_index_grid_strideIlZZZN2at6native14range_cuda_outERKN3c106ScalarES6_S6_RNS1_6TensorEENKUlvE_clEvENKUlvE1_clEvEUllE_EEvT_T0_PN15function_traitsISD_E11result_typeE ; -- Begin function _ZN12_GLOBAL__N_141elementwise_kernel_with_index_grid_strideIlZZZN2at6native14range_cuda_outERKN3c106ScalarES6_S6_RNS1_6TensorEENKUlvE_clEvENKUlvE1_clEvEUllE_EEvT_T0_PN15function_traitsISD_E11result_typeE
	.p2align	8
	.type	_ZN12_GLOBAL__N_141elementwise_kernel_with_index_grid_strideIlZZZN2at6native14range_cuda_outERKN3c106ScalarES6_S6_RNS1_6TensorEENKUlvE_clEvENKUlvE1_clEvEUllE_EEvT_T0_PN15function_traitsISD_E11result_typeE,@function
_ZN12_GLOBAL__N_141elementwise_kernel_with_index_grid_strideIlZZZN2at6native14range_cuda_outERKN3c106ScalarES6_S6_RNS1_6TensorEENKUlvE_clEvENKUlvE1_clEvEUllE_EEvT_T0_PN15function_traitsISD_E11result_typeE: ; @_ZN12_GLOBAL__N_141elementwise_kernel_with_index_grid_strideIlZZZN2at6native14range_cuda_outERKN3c106ScalarES6_S6_RNS1_6TensorEENKUlvE_clEvENKUlvE1_clEvEUllE_EEvT_T0_PN15function_traitsISD_E11result_typeE
; %bb.0:
	s_load_dword s3, s[0:1], 0x2c
	s_load_dwordx8 s[4:11], s[0:1], 0x0
	s_add_u32 s0, s0, 32
	s_addc_u32 s1, s1, 0
	v_mov_b32_e32 v1, 0
	s_waitcnt lgkmcnt(0)
	s_and_b32 s7, s3, 0xffff
	v_mov_b32_e32 v2, s2
	v_mad_u64_u32 v[2:3], s[12:13], s7, v2, v[0:1]
	v_cmp_gt_i64_e32 vcc, s[4:5], v[2:3]
	s_and_saveexec_b64 s[12:13], vcc
	s_cbranch_execz .LBB51_14
; %bb.1:
	s_load_dword s9, s[0:1], 0x0
	v_mov_b32_e32 v4, s7
	s_mov_b32 s3, 0
	v_mov_b32_e32 v5, s3
	s_waitcnt lgkmcnt(0)
	s_add_u32 s0, s2, s9
	s_addc_u32 s1, 0, 0
	s_mul_i32 s2, s1, s7
	v_mad_u64_u32 v[6:7], s[0:1], s0, v4, v[0:1]
	v_add_u32_e32 v7, s2, v7
	v_cmp_gt_i64_e32 vcc, s[4:5], v[6:7]
	v_mov_b32_e32 v4, s4
	v_mov_b32_e32 v0, s5
	v_cndmask_b32_e32 v8, v6, v4, vcc
	v_cndmask_b32_e64 v4, 0, 1, vcc
	v_cndmask_b32_e32 v0, v7, v0, vcc
	v_lshl_add_u64 v[6:7], v[6:7], 0, v[4:5]
	v_sub_co_u32_e32 v6, vcc, v8, v6
	s_mul_hi_u32 s13, s7, s9
	s_nop 0
	v_subb_co_u32_e32 v7, vcc, v0, v7, vcc
	v_or_b32_e32 v9, s13, v7
	v_mov_b32_e32 v8, v1
	s_mul_i32 s12, s7, s9
	v_cmp_ne_u64_e32 vcc, 0, v[8:9]
                                        ; implicit-def: $vgpr0_vgpr1
	s_and_saveexec_b64 s[0:1], vcc
	s_xor_b64 s[2:3], exec, s[0:1]
	s_cbranch_execz .LBB51_3
; %bb.2:
	v_cvt_f32_u32_e32 v0, s12
	v_cvt_f32_u32_e32 v1, s13
	s_sub_u32 s14, 0, s12
	s_subb_u32 s15, 0, s13
	v_mov_b32_e32 v9, 0
	v_fmamk_f32 v0, v1, 0x4f800000, v0
	v_rcp_f32_e32 v0, v0
	s_nop 0
	v_mul_f32_e32 v0, 0x5f7ffffc, v0
	v_mul_f32_e32 v1, 0x2f800000, v0
	v_trunc_f32_e32 v1, v1
	v_fmamk_f32 v0, v1, 0xcf800000, v0
	v_cvt_u32_f32_e32 v1, v1
	v_cvt_u32_f32_e32 v0, v0
	v_readfirstlane_b32 s16, v1
	v_readfirstlane_b32 s0, v0
	s_mul_i32 s1, s14, s16
	s_mul_hi_u32 s18, s14, s0
	s_mul_i32 s17, s15, s0
	s_add_i32 s1, s18, s1
	s_mul_i32 s19, s14, s0
	s_add_i32 s1, s1, s17
	s_mul_i32 s18, s0, s1
	s_mul_hi_u32 s20, s0, s19
	s_mul_hi_u32 s17, s0, s1
	s_add_u32 s18, s20, s18
	s_addc_u32 s17, 0, s17
	s_mul_hi_u32 s21, s16, s19
	s_mul_i32 s19, s16, s19
	s_add_u32 s18, s18, s19
	s_mul_hi_u32 s20, s16, s1
	s_addc_u32 s17, s17, s21
	s_addc_u32 s18, s20, 0
	s_mul_i32 s1, s16, s1
	s_add_u32 s1, s17, s1
	s_addc_u32 s17, 0, s18
	s_add_u32 s18, s0, s1
	s_cselect_b64 s[0:1], -1, 0
	s_cmp_lg_u64 s[0:1], 0
	s_addc_u32 s16, s16, s17
	s_mul_i32 s0, s14, s16
	s_mul_hi_u32 s1, s14, s18
	s_add_i32 s0, s1, s0
	s_mul_i32 s15, s15, s18
	s_add_i32 s0, s0, s15
	s_mul_i32 s14, s14, s18
	s_mul_hi_u32 s15, s16, s14
	s_mul_i32 s17, s16, s14
	s_mul_i32 s20, s18, s0
	s_mul_hi_u32 s14, s18, s14
	s_mul_hi_u32 s19, s18, s0
	s_add_u32 s14, s14, s20
	s_addc_u32 s19, 0, s19
	s_add_u32 s14, s14, s17
	s_mul_hi_u32 s1, s16, s0
	s_addc_u32 s14, s19, s15
	s_addc_u32 s1, s1, 0
	s_mul_i32 s0, s16, s0
	s_add_u32 s0, s14, s0
	s_addc_u32 s14, 0, s1
	s_add_u32 s15, s18, s0
	s_cselect_b64 s[0:1], -1, 0
	s_cmp_lg_u64 s[0:1], 0
	s_addc_u32 s14, s16, s14
	v_mad_u64_u32 v[0:1], s[0:1], v6, s14, 0
	v_mul_hi_u32 v8, v6, s15
	v_lshl_add_u64 v[0:1], v[8:9], 0, v[0:1]
	v_mad_u64_u32 v[12:13], s[0:1], v7, s15, 0
	v_add_co_u32_e32 v0, vcc, v0, v12
	v_mad_u64_u32 v[10:11], s[0:1], v7, s14, 0
	s_nop 0
	v_addc_co_u32_e32 v8, vcc, v1, v13, vcc
	s_nop 1
	v_addc_co_u32_e32 v11, vcc, 0, v11, vcc
	v_lshl_add_u64 v[0:1], v[8:9], 0, v[10:11]
	v_mul_lo_u32 v10, s13, v0
	v_mul_lo_u32 v11, s12, v1
	v_mad_u64_u32 v[8:9], s[0:1], s12, v0, 0
	v_add3_u32 v12, v9, v11, v10
	v_sub_u32_e32 v9, v7, v12
	v_mov_b32_e32 v10, s13
	v_sub_co_u32_e32 v6, vcc, v6, v8
	s_nop 1
	v_subb_co_u32_e64 v8, s[0:1], v9, v10, vcc
	v_subrev_co_u32_e64 v9, s[0:1], s12, v6
	v_subb_co_u32_e32 v7, vcc, v7, v12, vcc
	s_nop 0
	v_subbrev_co_u32_e64 v8, s[0:1], 0, v8, s[0:1]
	v_cmp_le_u32_e64 s[0:1], s13, v8
	v_cmp_le_u32_e32 vcc, s13, v7
	s_nop 0
	v_cndmask_b32_e64 v10, 0, -1, s[0:1]
	v_cmp_le_u32_e64 s[0:1], s12, v9
	s_nop 1
	v_cndmask_b32_e64 v9, 0, -1, s[0:1]
	v_cmp_eq_u32_e64 s[0:1], s13, v8
	s_nop 1
	v_cndmask_b32_e64 v13, v10, v9, s[0:1]
	v_lshl_add_u64 v[8:9], v[0:1], 0, 2
	v_lshl_add_u64 v[10:11], v[0:1], 0, 1
	v_cmp_ne_u32_e64 s[0:1], 0, v13
	s_nop 1
	v_cndmask_b32_e64 v9, v11, v9, s[0:1]
	v_cndmask_b32_e64 v11, 0, -1, vcc
	v_cmp_le_u32_e32 vcc, s12, v6
	s_nop 1
	v_cndmask_b32_e64 v6, 0, -1, vcc
	v_cmp_eq_u32_e32 vcc, s13, v7
	s_nop 1
	v_cndmask_b32_e32 v6, v11, v6, vcc
	v_cmp_ne_u32_e32 vcc, 0, v6
	v_cndmask_b32_e64 v6, v10, v8, s[0:1]
	s_nop 0
	v_cndmask_b32_e32 v1, v1, v9, vcc
	v_cndmask_b32_e32 v0, v0, v6, vcc
                                        ; implicit-def: $vgpr6
.LBB51_3:
	s_andn2_saveexec_b64 s[0:1], s[2:3]
	s_cbranch_execz .LBB51_5
; %bb.4:
	v_cvt_f32_u32_e32 v0, s12
	s_sub_i32 s2, 0, s12
	v_rcp_iflag_f32_e32 v0, v0
	s_nop 0
	v_mul_f32_e32 v0, 0x4f7ffffe, v0
	v_cvt_u32_f32_e32 v0, v0
	v_mul_lo_u32 v1, s2, v0
	v_mul_hi_u32 v1, v0, v1
	v_add_u32_e32 v0, v0, v1
	v_mul_hi_u32 v0, v6, v0
	v_mul_lo_u32 v1, v0, s12
	v_sub_u32_e32 v1, v6, v1
	v_add_u32_e32 v7, 1, v0
	v_subrev_u32_e32 v6, s12, v1
	v_cmp_le_u32_e32 vcc, s12, v1
	s_nop 1
	v_cndmask_b32_e32 v1, v1, v6, vcc
	v_cndmask_b32_e32 v0, v0, v7, vcc
	v_add_u32_e32 v6, 1, v0
	v_cmp_le_u32_e32 vcc, s12, v1
	v_mov_b32_e32 v1, 0
	s_nop 0
	v_cndmask_b32_e32 v0, v0, v6, vcc
.LBB51_5:
	s_or_b64 exec, exec, s[0:1]
	v_lshl_add_u64 v[0:1], v[0:1], 0, v[4:5]
	v_lshl_add_u64 v[0:1], v[0:1], 0, 1
	v_cmp_lt_u64_e32 vcc, 1, v[0:1]
	s_mov_b64 s[2:3], 0
                                        ; implicit-def: $vgpr4_vgpr5
	s_and_saveexec_b64 s[0:1], vcc
	s_xor_b64 s[0:1], exec, s[0:1]
	s_cbranch_execnz .LBB51_8
; %bb.6:
	s_andn2_saveexec_b64 s[0:1], s[0:1]
	s_cbranch_execnz .LBB51_11
.LBB51_7:
	s_or_b64 exec, exec, s[0:1]
	s_and_b64 exec, exec, s[2:3]
	s_cbranch_execnz .LBB51_12
	s_branch .LBB51_14
.LBB51_8:
	v_lshl_add_u64 v[4:5], v[2:3], 0, s[12:13]
	v_and_b32_e32 v8, -2, v0
	v_mov_b32_e32 v9, v1
	s_lshl_b64 s[14:15], s[12:13], 1
	v_mov_b64_e32 v[6:7], v[4:5]
	s_mov_b32 s22, s8
	s_mov_b32 s23, s8
	;; [unrolled: 1-line block ×6, first 2 shown]
	s_lshl_b64 s[2:3], s[12:13], 2
	v_lshl_add_u64 v[10:11], v[2:3], 2, s[10:11]
	s_lshl_b64 s[20:21], s[12:13], 3
	s_mov_b64 s[18:19], 0
	v_mov_b64_e32 v[12:13], v[8:9]
	v_mov_b64_e32 v[4:5], v[2:3]
.LBB51_9:                               ; =>This Inner Loop Header: Depth=1
	v_mul_lo_u32 v16, v4, s22
	v_lshl_add_u64 v[12:13], v[12:13], 0, -2
	v_mul_lo_u32 v17, v6, s23
	v_add_u32_e32 v16, s24, v16
	v_cmp_eq_u64_e32 vcc, 0, v[12:13]
	v_lshl_add_u64 v[14:15], v[10:11], 0, s[2:3]
	v_lshl_add_u64 v[6:7], v[6:7], 0, s[16:17]
	;; [unrolled: 1-line block ×3, first 2 shown]
	v_add_u32_e32 v17, s25, v17
	global_store_dword v[10:11], v16, off
	global_store_dword v[14:15], v17, off
	s_or_b64 s[18:19], vcc, s[18:19]
	v_lshl_add_u64 v[10:11], v[10:11], 0, s[20:21]
	s_andn2_b64 exec, exec, s[18:19]
	s_cbranch_execnz .LBB51_9
; %bb.10:
	s_or_b64 exec, exec, s[18:19]
	v_mad_u64_u32 v[2:3], s[14:15], v8, s12, v[2:3]
	v_mul_lo_u32 v4, v8, s13
	v_mul_lo_u32 v5, v9, s12
	v_cmp_ne_u64_e32 vcc, v[0:1], v[8:9]
	v_add3_u32 v3, v5, v3, v4
	v_mov_b64_e32 v[4:5], s[2:3]
	s_and_b64 s[2:3], vcc, exec
	s_andn2_saveexec_b64 s[0:1], s[0:1]
	s_cbranch_execz .LBB51_7
.LBB51_11:
	s_lshl_b64 s[14:15], s[12:13], 2
	v_mov_b64_e32 v[4:5], s[14:15]
	s_or_b64 s[2:3], s[2:3], exec
	s_or_b64 exec, exec, s[0:1]
	s_and_b64 exec, exec, s[2:3]
	s_cbranch_execz .LBB51_14
.LBB51_12:
	v_mul_lo_u32 v0, v2, s8
	s_mul_i32 s2, s9, s7
	v_add_u32_e32 v6, s6, v0
	s_mul_i32 s2, s2, s8
	v_lshl_add_u64 v[0:1], v[2:3], 2, s[10:11]
	s_mov_b64 s[0:1], 0
.LBB51_13:                              ; =>This Inner Loop Header: Depth=1
	v_lshl_add_u64 v[2:3], v[2:3], 0, s[12:13]
	v_cmp_le_i64_e32 vcc, s[4:5], v[2:3]
	global_store_dword v[0:1], v6, off
	v_add_u32_e32 v6, s2, v6
	s_or_b64 s[0:1], vcc, s[0:1]
	v_lshl_add_u64 v[0:1], v[0:1], 0, v[4:5]
	s_andn2_b64 exec, exec, s[0:1]
	s_cbranch_execnz .LBB51_13
.LBB51_14:
	s_endpgm
	.section	.rodata,"a",@progbits
	.p2align	6, 0x0
	.amdhsa_kernel _ZN12_GLOBAL__N_141elementwise_kernel_with_index_grid_strideIlZZZN2at6native14range_cuda_outERKN3c106ScalarES6_S6_RNS1_6TensorEENKUlvE_clEvENKUlvE1_clEvEUllE_EEvT_T0_PN15function_traitsISD_E11result_typeE
		.amdhsa_group_segment_fixed_size 0
		.amdhsa_private_segment_fixed_size 0
		.amdhsa_kernarg_size 288
		.amdhsa_user_sgpr_count 2
		.amdhsa_user_sgpr_dispatch_ptr 0
		.amdhsa_user_sgpr_queue_ptr 0
		.amdhsa_user_sgpr_kernarg_segment_ptr 1
		.amdhsa_user_sgpr_dispatch_id 0
		.amdhsa_user_sgpr_kernarg_preload_length 0
		.amdhsa_user_sgpr_kernarg_preload_offset 0
		.amdhsa_user_sgpr_private_segment_size 0
		.amdhsa_uses_dynamic_stack 0
		.amdhsa_enable_private_segment 0
		.amdhsa_system_sgpr_workgroup_id_x 1
		.amdhsa_system_sgpr_workgroup_id_y 0
		.amdhsa_system_sgpr_workgroup_id_z 0
		.amdhsa_system_sgpr_workgroup_info 0
		.amdhsa_system_vgpr_workitem_id 0
		.amdhsa_next_free_vgpr 18
		.amdhsa_next_free_sgpr 26
		.amdhsa_accum_offset 20
		.amdhsa_reserve_vcc 1
		.amdhsa_float_round_mode_32 0
		.amdhsa_float_round_mode_16_64 0
		.amdhsa_float_denorm_mode_32 3
		.amdhsa_float_denorm_mode_16_64 3
		.amdhsa_dx10_clamp 1
		.amdhsa_ieee_mode 1
		.amdhsa_fp16_overflow 0
		.amdhsa_tg_split 0
		.amdhsa_exception_fp_ieee_invalid_op 0
		.amdhsa_exception_fp_denorm_src 0
		.amdhsa_exception_fp_ieee_div_zero 0
		.amdhsa_exception_fp_ieee_overflow 0
		.amdhsa_exception_fp_ieee_underflow 0
		.amdhsa_exception_fp_ieee_inexact 0
		.amdhsa_exception_int_div_zero 0
	.end_amdhsa_kernel
	.section	.text._ZN12_GLOBAL__N_141elementwise_kernel_with_index_grid_strideIlZZZN2at6native14range_cuda_outERKN3c106ScalarES6_S6_RNS1_6TensorEENKUlvE_clEvENKUlvE1_clEvEUllE_EEvT_T0_PN15function_traitsISD_E11result_typeE,"axG",@progbits,_ZN12_GLOBAL__N_141elementwise_kernel_with_index_grid_strideIlZZZN2at6native14range_cuda_outERKN3c106ScalarES6_S6_RNS1_6TensorEENKUlvE_clEvENKUlvE1_clEvEUllE_EEvT_T0_PN15function_traitsISD_E11result_typeE,comdat
.Lfunc_end51:
	.size	_ZN12_GLOBAL__N_141elementwise_kernel_with_index_grid_strideIlZZZN2at6native14range_cuda_outERKN3c106ScalarES6_S6_RNS1_6TensorEENKUlvE_clEvENKUlvE1_clEvEUllE_EEvT_T0_PN15function_traitsISD_E11result_typeE, .Lfunc_end51-_ZN12_GLOBAL__N_141elementwise_kernel_with_index_grid_strideIlZZZN2at6native14range_cuda_outERKN3c106ScalarES6_S6_RNS1_6TensorEENKUlvE_clEvENKUlvE1_clEvEUllE_EEvT_T0_PN15function_traitsISD_E11result_typeE
                                        ; -- End function
	.set _ZN12_GLOBAL__N_141elementwise_kernel_with_index_grid_strideIlZZZN2at6native14range_cuda_outERKN3c106ScalarES6_S6_RNS1_6TensorEENKUlvE_clEvENKUlvE1_clEvEUllE_EEvT_T0_PN15function_traitsISD_E11result_typeE.num_vgpr, 18
	.set _ZN12_GLOBAL__N_141elementwise_kernel_with_index_grid_strideIlZZZN2at6native14range_cuda_outERKN3c106ScalarES6_S6_RNS1_6TensorEENKUlvE_clEvENKUlvE1_clEvEUllE_EEvT_T0_PN15function_traitsISD_E11result_typeE.num_agpr, 0
	.set _ZN12_GLOBAL__N_141elementwise_kernel_with_index_grid_strideIlZZZN2at6native14range_cuda_outERKN3c106ScalarES6_S6_RNS1_6TensorEENKUlvE_clEvENKUlvE1_clEvEUllE_EEvT_T0_PN15function_traitsISD_E11result_typeE.numbered_sgpr, 26
	.set _ZN12_GLOBAL__N_141elementwise_kernel_with_index_grid_strideIlZZZN2at6native14range_cuda_outERKN3c106ScalarES6_S6_RNS1_6TensorEENKUlvE_clEvENKUlvE1_clEvEUllE_EEvT_T0_PN15function_traitsISD_E11result_typeE.num_named_barrier, 0
	.set _ZN12_GLOBAL__N_141elementwise_kernel_with_index_grid_strideIlZZZN2at6native14range_cuda_outERKN3c106ScalarES6_S6_RNS1_6TensorEENKUlvE_clEvENKUlvE1_clEvEUllE_EEvT_T0_PN15function_traitsISD_E11result_typeE.private_seg_size, 0
	.set _ZN12_GLOBAL__N_141elementwise_kernel_with_index_grid_strideIlZZZN2at6native14range_cuda_outERKN3c106ScalarES6_S6_RNS1_6TensorEENKUlvE_clEvENKUlvE1_clEvEUllE_EEvT_T0_PN15function_traitsISD_E11result_typeE.uses_vcc, 1
	.set _ZN12_GLOBAL__N_141elementwise_kernel_with_index_grid_strideIlZZZN2at6native14range_cuda_outERKN3c106ScalarES6_S6_RNS1_6TensorEENKUlvE_clEvENKUlvE1_clEvEUllE_EEvT_T0_PN15function_traitsISD_E11result_typeE.uses_flat_scratch, 0
	.set _ZN12_GLOBAL__N_141elementwise_kernel_with_index_grid_strideIlZZZN2at6native14range_cuda_outERKN3c106ScalarES6_S6_RNS1_6TensorEENKUlvE_clEvENKUlvE1_clEvEUllE_EEvT_T0_PN15function_traitsISD_E11result_typeE.has_dyn_sized_stack, 0
	.set _ZN12_GLOBAL__N_141elementwise_kernel_with_index_grid_strideIlZZZN2at6native14range_cuda_outERKN3c106ScalarES6_S6_RNS1_6TensorEENKUlvE_clEvENKUlvE1_clEvEUllE_EEvT_T0_PN15function_traitsISD_E11result_typeE.has_recursion, 0
	.set _ZN12_GLOBAL__N_141elementwise_kernel_with_index_grid_strideIlZZZN2at6native14range_cuda_outERKN3c106ScalarES6_S6_RNS1_6TensorEENKUlvE_clEvENKUlvE1_clEvEUllE_EEvT_T0_PN15function_traitsISD_E11result_typeE.has_indirect_call, 0
	.section	.AMDGPU.csdata,"",@progbits
; Kernel info:
; codeLenInByte = 1288
; TotalNumSgprs: 32
; NumVgprs: 18
; NumAgprs: 0
; TotalNumVgprs: 18
; ScratchSize: 0
; MemoryBound: 0
; FloatMode: 240
; IeeeMode: 1
; LDSByteSize: 0 bytes/workgroup (compile time only)
; SGPRBlocks: 3
; VGPRBlocks: 2
; NumSGPRsForWavesPerEU: 32
; NumVGPRsForWavesPerEU: 18
; AccumOffset: 20
; Occupancy: 8
; WaveLimiterHint : 0
; COMPUTE_PGM_RSRC2:SCRATCH_EN: 0
; COMPUTE_PGM_RSRC2:USER_SGPR: 2
; COMPUTE_PGM_RSRC2:TRAP_HANDLER: 0
; COMPUTE_PGM_RSRC2:TGID_X_EN: 1
; COMPUTE_PGM_RSRC2:TGID_Y_EN: 0
; COMPUTE_PGM_RSRC2:TGID_Z_EN: 0
; COMPUTE_PGM_RSRC2:TIDIG_COMP_CNT: 0
; COMPUTE_PGM_RSRC3_GFX90A:ACCUM_OFFSET: 4
; COMPUTE_PGM_RSRC3_GFX90A:TG_SPLIT: 0
	.section	.text._ZN12_GLOBAL__N_141elementwise_kernel_with_index_grid_strideIiZZZN2at6native14range_cuda_outERKN3c106ScalarES6_S6_RNS1_6TensorEENKUlvE_clEvENKUlvE2_clEvEUllE_EEvT_T0_PN15function_traitsISD_E11result_typeE,"axG",@progbits,_ZN12_GLOBAL__N_141elementwise_kernel_with_index_grid_strideIiZZZN2at6native14range_cuda_outERKN3c106ScalarES6_S6_RNS1_6TensorEENKUlvE_clEvENKUlvE2_clEvEUllE_EEvT_T0_PN15function_traitsISD_E11result_typeE,comdat
	.globl	_ZN12_GLOBAL__N_141elementwise_kernel_with_index_grid_strideIiZZZN2at6native14range_cuda_outERKN3c106ScalarES6_S6_RNS1_6TensorEENKUlvE_clEvENKUlvE2_clEvEUllE_EEvT_T0_PN15function_traitsISD_E11result_typeE ; -- Begin function _ZN12_GLOBAL__N_141elementwise_kernel_with_index_grid_strideIiZZZN2at6native14range_cuda_outERKN3c106ScalarES6_S6_RNS1_6TensorEENKUlvE_clEvENKUlvE2_clEvEUllE_EEvT_T0_PN15function_traitsISD_E11result_typeE
	.p2align	8
	.type	_ZN12_GLOBAL__N_141elementwise_kernel_with_index_grid_strideIiZZZN2at6native14range_cuda_outERKN3c106ScalarES6_S6_RNS1_6TensorEENKUlvE_clEvENKUlvE2_clEvEUllE_EEvT_T0_PN15function_traitsISD_E11result_typeE,@function
_ZN12_GLOBAL__N_141elementwise_kernel_with_index_grid_strideIiZZZN2at6native14range_cuda_outERKN3c106ScalarES6_S6_RNS1_6TensorEENKUlvE_clEvENKUlvE2_clEvEUllE_EEvT_T0_PN15function_traitsISD_E11result_typeE: ; @_ZN12_GLOBAL__N_141elementwise_kernel_with_index_grid_strideIiZZZN2at6native14range_cuda_outERKN3c106ScalarES6_S6_RNS1_6TensorEENKUlvE_clEvENKUlvE2_clEvEUllE_EEvT_T0_PN15function_traitsISD_E11result_typeE
; %bb.0:
	s_load_dword s3, s[0:1], 0x2c
	s_load_dword s8, s[0:1], 0x0
	s_add_u32 s4, s0, 32
	s_addc_u32 s5, s1, 0
	s_waitcnt lgkmcnt(0)
	s_and_b32 s3, s3, 0xffff
	s_mul_i32 s2, s2, s3
	v_add_u32_e32 v0, s2, v0
	v_cmp_gt_i32_e32 vcc, s8, v0
	s_and_saveexec_b64 s[6:7], vcc
	s_cbranch_execz .LBB52_3
; %bb.1:
	s_load_dwordx4 s[12:15], s[0:1], 0x8
	s_load_dword s2, s[4:5], 0x0
	s_load_dwordx2 s[6:7], s[0:1], 0x18
	v_ashrrev_i32_e32 v1, 31, v0
	s_waitcnt lgkmcnt(0)
	v_mov_b32_e32 v4, s12
	v_mov_b32_e32 v5, s13
	s_mul_i32 s0, s2, s3
	s_ashr_i32 s1, s0, 31
	v_mad_u64_u32 v[4:5], s[4:5], s14, v0, v[4:5]
	s_lshl_b64 s[2:3], s[0:1], 3
	s_mul_i32 s1, s14, s1
	s_mul_hi_u32 s4, s14, s0
	v_lshl_add_u64 v[2:3], v[0:1], 3, s[6:7]
	v_mul_lo_u32 v6, s15, v0
	v_mul_lo_u32 v1, s14, v1
	s_add_i32 s1, s4, s1
	s_mul_i32 s4, s15, s0
	v_add3_u32 v5, v6, v5, v1
	s_add_i32 s5, s1, s4
	s_mul_i32 s4, s14, s0
	s_mov_b64 s[6:7], 0
.LBB52_2:                               ; =>This Inner Loop Header: Depth=1
	v_add_u32_e32 v0, s0, v0
	v_cmp_le_i32_e32 vcc, s8, v0
	global_store_dwordx2 v[2:3], v[4:5], off
	v_lshl_add_u64 v[2:3], v[2:3], 0, s[2:3]
	s_or_b64 s[6:7], vcc, s[6:7]
	v_lshl_add_u64 v[4:5], v[4:5], 0, s[4:5]
	s_andn2_b64 exec, exec, s[6:7]
	s_cbranch_execnz .LBB52_2
.LBB52_3:
	s_endpgm
	.section	.rodata,"a",@progbits
	.p2align	6, 0x0
	.amdhsa_kernel _ZN12_GLOBAL__N_141elementwise_kernel_with_index_grid_strideIiZZZN2at6native14range_cuda_outERKN3c106ScalarES6_S6_RNS1_6TensorEENKUlvE_clEvENKUlvE2_clEvEUllE_EEvT_T0_PN15function_traitsISD_E11result_typeE
		.amdhsa_group_segment_fixed_size 0
		.amdhsa_private_segment_fixed_size 0
		.amdhsa_kernarg_size 288
		.amdhsa_user_sgpr_count 2
		.amdhsa_user_sgpr_dispatch_ptr 0
		.amdhsa_user_sgpr_queue_ptr 0
		.amdhsa_user_sgpr_kernarg_segment_ptr 1
		.amdhsa_user_sgpr_dispatch_id 0
		.amdhsa_user_sgpr_kernarg_preload_length 0
		.amdhsa_user_sgpr_kernarg_preload_offset 0
		.amdhsa_user_sgpr_private_segment_size 0
		.amdhsa_uses_dynamic_stack 0
		.amdhsa_enable_private_segment 0
		.amdhsa_system_sgpr_workgroup_id_x 1
		.amdhsa_system_sgpr_workgroup_id_y 0
		.amdhsa_system_sgpr_workgroup_id_z 0
		.amdhsa_system_sgpr_workgroup_info 0
		.amdhsa_system_vgpr_workitem_id 0
		.amdhsa_next_free_vgpr 7
		.amdhsa_next_free_sgpr 16
		.amdhsa_accum_offset 8
		.amdhsa_reserve_vcc 1
		.amdhsa_float_round_mode_32 0
		.amdhsa_float_round_mode_16_64 0
		.amdhsa_float_denorm_mode_32 3
		.amdhsa_float_denorm_mode_16_64 3
		.amdhsa_dx10_clamp 1
		.amdhsa_ieee_mode 1
		.amdhsa_fp16_overflow 0
		.amdhsa_tg_split 0
		.amdhsa_exception_fp_ieee_invalid_op 0
		.amdhsa_exception_fp_denorm_src 0
		.amdhsa_exception_fp_ieee_div_zero 0
		.amdhsa_exception_fp_ieee_overflow 0
		.amdhsa_exception_fp_ieee_underflow 0
		.amdhsa_exception_fp_ieee_inexact 0
		.amdhsa_exception_int_div_zero 0
	.end_amdhsa_kernel
	.section	.text._ZN12_GLOBAL__N_141elementwise_kernel_with_index_grid_strideIiZZZN2at6native14range_cuda_outERKN3c106ScalarES6_S6_RNS1_6TensorEENKUlvE_clEvENKUlvE2_clEvEUllE_EEvT_T0_PN15function_traitsISD_E11result_typeE,"axG",@progbits,_ZN12_GLOBAL__N_141elementwise_kernel_with_index_grid_strideIiZZZN2at6native14range_cuda_outERKN3c106ScalarES6_S6_RNS1_6TensorEENKUlvE_clEvENKUlvE2_clEvEUllE_EEvT_T0_PN15function_traitsISD_E11result_typeE,comdat
.Lfunc_end52:
	.size	_ZN12_GLOBAL__N_141elementwise_kernel_with_index_grid_strideIiZZZN2at6native14range_cuda_outERKN3c106ScalarES6_S6_RNS1_6TensorEENKUlvE_clEvENKUlvE2_clEvEUllE_EEvT_T0_PN15function_traitsISD_E11result_typeE, .Lfunc_end52-_ZN12_GLOBAL__N_141elementwise_kernel_with_index_grid_strideIiZZZN2at6native14range_cuda_outERKN3c106ScalarES6_S6_RNS1_6TensorEENKUlvE_clEvENKUlvE2_clEvEUllE_EEvT_T0_PN15function_traitsISD_E11result_typeE
                                        ; -- End function
	.set _ZN12_GLOBAL__N_141elementwise_kernel_with_index_grid_strideIiZZZN2at6native14range_cuda_outERKN3c106ScalarES6_S6_RNS1_6TensorEENKUlvE_clEvENKUlvE2_clEvEUllE_EEvT_T0_PN15function_traitsISD_E11result_typeE.num_vgpr, 7
	.set _ZN12_GLOBAL__N_141elementwise_kernel_with_index_grid_strideIiZZZN2at6native14range_cuda_outERKN3c106ScalarES6_S6_RNS1_6TensorEENKUlvE_clEvENKUlvE2_clEvEUllE_EEvT_T0_PN15function_traitsISD_E11result_typeE.num_agpr, 0
	.set _ZN12_GLOBAL__N_141elementwise_kernel_with_index_grid_strideIiZZZN2at6native14range_cuda_outERKN3c106ScalarES6_S6_RNS1_6TensorEENKUlvE_clEvENKUlvE2_clEvEUllE_EEvT_T0_PN15function_traitsISD_E11result_typeE.numbered_sgpr, 16
	.set _ZN12_GLOBAL__N_141elementwise_kernel_with_index_grid_strideIiZZZN2at6native14range_cuda_outERKN3c106ScalarES6_S6_RNS1_6TensorEENKUlvE_clEvENKUlvE2_clEvEUllE_EEvT_T0_PN15function_traitsISD_E11result_typeE.num_named_barrier, 0
	.set _ZN12_GLOBAL__N_141elementwise_kernel_with_index_grid_strideIiZZZN2at6native14range_cuda_outERKN3c106ScalarES6_S6_RNS1_6TensorEENKUlvE_clEvENKUlvE2_clEvEUllE_EEvT_T0_PN15function_traitsISD_E11result_typeE.private_seg_size, 0
	.set _ZN12_GLOBAL__N_141elementwise_kernel_with_index_grid_strideIiZZZN2at6native14range_cuda_outERKN3c106ScalarES6_S6_RNS1_6TensorEENKUlvE_clEvENKUlvE2_clEvEUllE_EEvT_T0_PN15function_traitsISD_E11result_typeE.uses_vcc, 1
	.set _ZN12_GLOBAL__N_141elementwise_kernel_with_index_grid_strideIiZZZN2at6native14range_cuda_outERKN3c106ScalarES6_S6_RNS1_6TensorEENKUlvE_clEvENKUlvE2_clEvEUllE_EEvT_T0_PN15function_traitsISD_E11result_typeE.uses_flat_scratch, 0
	.set _ZN12_GLOBAL__N_141elementwise_kernel_with_index_grid_strideIiZZZN2at6native14range_cuda_outERKN3c106ScalarES6_S6_RNS1_6TensorEENKUlvE_clEvENKUlvE2_clEvEUllE_EEvT_T0_PN15function_traitsISD_E11result_typeE.has_dyn_sized_stack, 0
	.set _ZN12_GLOBAL__N_141elementwise_kernel_with_index_grid_strideIiZZZN2at6native14range_cuda_outERKN3c106ScalarES6_S6_RNS1_6TensorEENKUlvE_clEvENKUlvE2_clEvEUllE_EEvT_T0_PN15function_traitsISD_E11result_typeE.has_recursion, 0
	.set _ZN12_GLOBAL__N_141elementwise_kernel_with_index_grid_strideIiZZZN2at6native14range_cuda_outERKN3c106ScalarES6_S6_RNS1_6TensorEENKUlvE_clEvENKUlvE2_clEvEUllE_EEvT_T0_PN15function_traitsISD_E11result_typeE.has_indirect_call, 0
	.section	.AMDGPU.csdata,"",@progbits
; Kernel info:
; codeLenInByte = 224
; TotalNumSgprs: 22
; NumVgprs: 7
; NumAgprs: 0
; TotalNumVgprs: 7
; ScratchSize: 0
; MemoryBound: 0
; FloatMode: 240
; IeeeMode: 1
; LDSByteSize: 0 bytes/workgroup (compile time only)
; SGPRBlocks: 2
; VGPRBlocks: 0
; NumSGPRsForWavesPerEU: 22
; NumVGPRsForWavesPerEU: 7
; AccumOffset: 8
; Occupancy: 8
; WaveLimiterHint : 0
; COMPUTE_PGM_RSRC2:SCRATCH_EN: 0
; COMPUTE_PGM_RSRC2:USER_SGPR: 2
; COMPUTE_PGM_RSRC2:TRAP_HANDLER: 0
; COMPUTE_PGM_RSRC2:TGID_X_EN: 1
; COMPUTE_PGM_RSRC2:TGID_Y_EN: 0
; COMPUTE_PGM_RSRC2:TGID_Z_EN: 0
; COMPUTE_PGM_RSRC2:TIDIG_COMP_CNT: 0
; COMPUTE_PGM_RSRC3_GFX90A:ACCUM_OFFSET: 1
; COMPUTE_PGM_RSRC3_GFX90A:TG_SPLIT: 0
	.section	.text._ZN12_GLOBAL__N_141elementwise_kernel_with_index_grid_strideIlZZZN2at6native14range_cuda_outERKN3c106ScalarES6_S6_RNS1_6TensorEENKUlvE_clEvENKUlvE2_clEvEUllE_EEvT_T0_PN15function_traitsISD_E11result_typeE,"axG",@progbits,_ZN12_GLOBAL__N_141elementwise_kernel_with_index_grid_strideIlZZZN2at6native14range_cuda_outERKN3c106ScalarES6_S6_RNS1_6TensorEENKUlvE_clEvENKUlvE2_clEvEUllE_EEvT_T0_PN15function_traitsISD_E11result_typeE,comdat
	.globl	_ZN12_GLOBAL__N_141elementwise_kernel_with_index_grid_strideIlZZZN2at6native14range_cuda_outERKN3c106ScalarES6_S6_RNS1_6TensorEENKUlvE_clEvENKUlvE2_clEvEUllE_EEvT_T0_PN15function_traitsISD_E11result_typeE ; -- Begin function _ZN12_GLOBAL__N_141elementwise_kernel_with_index_grid_strideIlZZZN2at6native14range_cuda_outERKN3c106ScalarES6_S6_RNS1_6TensorEENKUlvE_clEvENKUlvE2_clEvEUllE_EEvT_T0_PN15function_traitsISD_E11result_typeE
	.p2align	8
	.type	_ZN12_GLOBAL__N_141elementwise_kernel_with_index_grid_strideIlZZZN2at6native14range_cuda_outERKN3c106ScalarES6_S6_RNS1_6TensorEENKUlvE_clEvENKUlvE2_clEvEUllE_EEvT_T0_PN15function_traitsISD_E11result_typeE,@function
_ZN12_GLOBAL__N_141elementwise_kernel_with_index_grid_strideIlZZZN2at6native14range_cuda_outERKN3c106ScalarES6_S6_RNS1_6TensorEENKUlvE_clEvENKUlvE2_clEvEUllE_EEvT_T0_PN15function_traitsISD_E11result_typeE: ; @_ZN12_GLOBAL__N_141elementwise_kernel_with_index_grid_strideIlZZZN2at6native14range_cuda_outERKN3c106ScalarES6_S6_RNS1_6TensorEENKUlvE_clEvENKUlvE2_clEvEUllE_EEvT_T0_PN15function_traitsISD_E11result_typeE
; %bb.0:
	s_load_dword s3, s[0:1], 0x2c
	s_load_dwordx8 s[4:11], s[0:1], 0x0
	s_add_u32 s0, s0, 32
	s_addc_u32 s1, s1, 0
	v_mov_b32_e32 v1, 0
	s_waitcnt lgkmcnt(0)
	s_and_b32 s3, s3, 0xffff
	v_mov_b32_e32 v2, s2
	v_mad_u64_u32 v[0:1], s[12:13], s3, v2, v[0:1]
	v_cmp_gt_i64_e32 vcc, s[4:5], v[0:1]
	s_and_saveexec_b64 s[12:13], vcc
	s_cbranch_execz .LBB53_3
; %bb.1:
	s_load_dword s0, s[0:1], 0x0
	v_mov_b32_e32 v2, s6
	v_mov_b32_e32 v3, s7
	;; [unrolled: 1-line block ×4, first 2 shown]
	s_waitcnt lgkmcnt(0)
	s_mul_hi_u32 s1, s3, s0
	s_mul_i32 s0, s3, s0
	v_mad_u64_u32 v[2:3], s[2:3], s8, v0, v[2:3]
	s_mul_i32 s2, s0, s9
	s_mul_hi_u32 s3, s0, s8
	v_mul_lo_u32 v6, s8, v1
	v_mul_lo_u32 v7, s9, v0
	s_add_i32 s2, s3, s2
	s_mul_i32 s3, s1, s8
	v_add3_u32 v3, v7, v3, v6
	s_add_i32 s3, s2, s3
	s_mul_i32 s2, s0, s8
	v_lshl_add_u64 v[4:5], v[0:1], 3, v[4:5]
	s_lshl_b64 s[6:7], s[0:1], 3
	s_mov_b64 s[8:9], 0
.LBB53_2:                               ; =>This Inner Loop Header: Depth=1
	v_lshl_add_u64 v[0:1], v[0:1], 0, s[0:1]
	v_cmp_le_i64_e32 vcc, s[4:5], v[0:1]
	global_store_dwordx2 v[4:5], v[2:3], off
	v_lshl_add_u64 v[2:3], v[2:3], 0, s[2:3]
	s_or_b64 s[8:9], vcc, s[8:9]
	v_lshl_add_u64 v[4:5], v[4:5], 0, s[6:7]
	s_andn2_b64 exec, exec, s[8:9]
	s_cbranch_execnz .LBB53_2
.LBB53_3:
	s_endpgm
	.section	.rodata,"a",@progbits
	.p2align	6, 0x0
	.amdhsa_kernel _ZN12_GLOBAL__N_141elementwise_kernel_with_index_grid_strideIlZZZN2at6native14range_cuda_outERKN3c106ScalarES6_S6_RNS1_6TensorEENKUlvE_clEvENKUlvE2_clEvEUllE_EEvT_T0_PN15function_traitsISD_E11result_typeE
		.amdhsa_group_segment_fixed_size 0
		.amdhsa_private_segment_fixed_size 0
		.amdhsa_kernarg_size 288
		.amdhsa_user_sgpr_count 2
		.amdhsa_user_sgpr_dispatch_ptr 0
		.amdhsa_user_sgpr_queue_ptr 0
		.amdhsa_user_sgpr_kernarg_segment_ptr 1
		.amdhsa_user_sgpr_dispatch_id 0
		.amdhsa_user_sgpr_kernarg_preload_length 0
		.amdhsa_user_sgpr_kernarg_preload_offset 0
		.amdhsa_user_sgpr_private_segment_size 0
		.amdhsa_uses_dynamic_stack 0
		.amdhsa_enable_private_segment 0
		.amdhsa_system_sgpr_workgroup_id_x 1
		.amdhsa_system_sgpr_workgroup_id_y 0
		.amdhsa_system_sgpr_workgroup_id_z 0
		.amdhsa_system_sgpr_workgroup_info 0
		.amdhsa_system_vgpr_workitem_id 0
		.amdhsa_next_free_vgpr 8
		.amdhsa_next_free_sgpr 14
		.amdhsa_accum_offset 8
		.amdhsa_reserve_vcc 1
		.amdhsa_float_round_mode_32 0
		.amdhsa_float_round_mode_16_64 0
		.amdhsa_float_denorm_mode_32 3
		.amdhsa_float_denorm_mode_16_64 3
		.amdhsa_dx10_clamp 1
		.amdhsa_ieee_mode 1
		.amdhsa_fp16_overflow 0
		.amdhsa_tg_split 0
		.amdhsa_exception_fp_ieee_invalid_op 0
		.amdhsa_exception_fp_denorm_src 0
		.amdhsa_exception_fp_ieee_div_zero 0
		.amdhsa_exception_fp_ieee_overflow 0
		.amdhsa_exception_fp_ieee_underflow 0
		.amdhsa_exception_fp_ieee_inexact 0
		.amdhsa_exception_int_div_zero 0
	.end_amdhsa_kernel
	.section	.text._ZN12_GLOBAL__N_141elementwise_kernel_with_index_grid_strideIlZZZN2at6native14range_cuda_outERKN3c106ScalarES6_S6_RNS1_6TensorEENKUlvE_clEvENKUlvE2_clEvEUllE_EEvT_T0_PN15function_traitsISD_E11result_typeE,"axG",@progbits,_ZN12_GLOBAL__N_141elementwise_kernel_with_index_grid_strideIlZZZN2at6native14range_cuda_outERKN3c106ScalarES6_S6_RNS1_6TensorEENKUlvE_clEvENKUlvE2_clEvEUllE_EEvT_T0_PN15function_traitsISD_E11result_typeE,comdat
.Lfunc_end53:
	.size	_ZN12_GLOBAL__N_141elementwise_kernel_with_index_grid_strideIlZZZN2at6native14range_cuda_outERKN3c106ScalarES6_S6_RNS1_6TensorEENKUlvE_clEvENKUlvE2_clEvEUllE_EEvT_T0_PN15function_traitsISD_E11result_typeE, .Lfunc_end53-_ZN12_GLOBAL__N_141elementwise_kernel_with_index_grid_strideIlZZZN2at6native14range_cuda_outERKN3c106ScalarES6_S6_RNS1_6TensorEENKUlvE_clEvENKUlvE2_clEvEUllE_EEvT_T0_PN15function_traitsISD_E11result_typeE
                                        ; -- End function
	.set _ZN12_GLOBAL__N_141elementwise_kernel_with_index_grid_strideIlZZZN2at6native14range_cuda_outERKN3c106ScalarES6_S6_RNS1_6TensorEENKUlvE_clEvENKUlvE2_clEvEUllE_EEvT_T0_PN15function_traitsISD_E11result_typeE.num_vgpr, 8
	.set _ZN12_GLOBAL__N_141elementwise_kernel_with_index_grid_strideIlZZZN2at6native14range_cuda_outERKN3c106ScalarES6_S6_RNS1_6TensorEENKUlvE_clEvENKUlvE2_clEvEUllE_EEvT_T0_PN15function_traitsISD_E11result_typeE.num_agpr, 0
	.set _ZN12_GLOBAL__N_141elementwise_kernel_with_index_grid_strideIlZZZN2at6native14range_cuda_outERKN3c106ScalarES6_S6_RNS1_6TensorEENKUlvE_clEvENKUlvE2_clEvEUllE_EEvT_T0_PN15function_traitsISD_E11result_typeE.numbered_sgpr, 14
	.set _ZN12_GLOBAL__N_141elementwise_kernel_with_index_grid_strideIlZZZN2at6native14range_cuda_outERKN3c106ScalarES6_S6_RNS1_6TensorEENKUlvE_clEvENKUlvE2_clEvEUllE_EEvT_T0_PN15function_traitsISD_E11result_typeE.num_named_barrier, 0
	.set _ZN12_GLOBAL__N_141elementwise_kernel_with_index_grid_strideIlZZZN2at6native14range_cuda_outERKN3c106ScalarES6_S6_RNS1_6TensorEENKUlvE_clEvENKUlvE2_clEvEUllE_EEvT_T0_PN15function_traitsISD_E11result_typeE.private_seg_size, 0
	.set _ZN12_GLOBAL__N_141elementwise_kernel_with_index_grid_strideIlZZZN2at6native14range_cuda_outERKN3c106ScalarES6_S6_RNS1_6TensorEENKUlvE_clEvENKUlvE2_clEvEUllE_EEvT_T0_PN15function_traitsISD_E11result_typeE.uses_vcc, 1
	.set _ZN12_GLOBAL__N_141elementwise_kernel_with_index_grid_strideIlZZZN2at6native14range_cuda_outERKN3c106ScalarES6_S6_RNS1_6TensorEENKUlvE_clEvENKUlvE2_clEvEUllE_EEvT_T0_PN15function_traitsISD_E11result_typeE.uses_flat_scratch, 0
	.set _ZN12_GLOBAL__N_141elementwise_kernel_with_index_grid_strideIlZZZN2at6native14range_cuda_outERKN3c106ScalarES6_S6_RNS1_6TensorEENKUlvE_clEvENKUlvE2_clEvEUllE_EEvT_T0_PN15function_traitsISD_E11result_typeE.has_dyn_sized_stack, 0
	.set _ZN12_GLOBAL__N_141elementwise_kernel_with_index_grid_strideIlZZZN2at6native14range_cuda_outERKN3c106ScalarES6_S6_RNS1_6TensorEENKUlvE_clEvENKUlvE2_clEvEUllE_EEvT_T0_PN15function_traitsISD_E11result_typeE.has_recursion, 0
	.set _ZN12_GLOBAL__N_141elementwise_kernel_with_index_grid_strideIlZZZN2at6native14range_cuda_outERKN3c106ScalarES6_S6_RNS1_6TensorEENKUlvE_clEvENKUlvE2_clEvEUllE_EEvT_T0_PN15function_traitsISD_E11result_typeE.has_indirect_call, 0
	.section	.AMDGPU.csdata,"",@progbits
; Kernel info:
; codeLenInByte = 224
; TotalNumSgprs: 20
; NumVgprs: 8
; NumAgprs: 0
; TotalNumVgprs: 8
; ScratchSize: 0
; MemoryBound: 0
; FloatMode: 240
; IeeeMode: 1
; LDSByteSize: 0 bytes/workgroup (compile time only)
; SGPRBlocks: 2
; VGPRBlocks: 0
; NumSGPRsForWavesPerEU: 20
; NumVGPRsForWavesPerEU: 8
; AccumOffset: 8
; Occupancy: 8
; WaveLimiterHint : 0
; COMPUTE_PGM_RSRC2:SCRATCH_EN: 0
; COMPUTE_PGM_RSRC2:USER_SGPR: 2
; COMPUTE_PGM_RSRC2:TRAP_HANDLER: 0
; COMPUTE_PGM_RSRC2:TGID_X_EN: 1
; COMPUTE_PGM_RSRC2:TGID_Y_EN: 0
; COMPUTE_PGM_RSRC2:TGID_Z_EN: 0
; COMPUTE_PGM_RSRC2:TIDIG_COMP_CNT: 0
; COMPUTE_PGM_RSRC3_GFX90A:ACCUM_OFFSET: 1
; COMPUTE_PGM_RSRC3_GFX90A:TG_SPLIT: 0
	.section	.text._ZN12_GLOBAL__N_141elementwise_kernel_with_index_grid_strideIiZZZN2at6native14range_cuda_outERKN3c106ScalarES6_S6_RNS1_6TensorEENKUlvE_clEvENKUlvE3_clEvEUllE_EEvT_T0_PN15function_traitsISD_E11result_typeE,"axG",@progbits,_ZN12_GLOBAL__N_141elementwise_kernel_with_index_grid_strideIiZZZN2at6native14range_cuda_outERKN3c106ScalarES6_S6_RNS1_6TensorEENKUlvE_clEvENKUlvE3_clEvEUllE_EEvT_T0_PN15function_traitsISD_E11result_typeE,comdat
	.globl	_ZN12_GLOBAL__N_141elementwise_kernel_with_index_grid_strideIiZZZN2at6native14range_cuda_outERKN3c106ScalarES6_S6_RNS1_6TensorEENKUlvE_clEvENKUlvE3_clEvEUllE_EEvT_T0_PN15function_traitsISD_E11result_typeE ; -- Begin function _ZN12_GLOBAL__N_141elementwise_kernel_with_index_grid_strideIiZZZN2at6native14range_cuda_outERKN3c106ScalarES6_S6_RNS1_6TensorEENKUlvE_clEvENKUlvE3_clEvEUllE_EEvT_T0_PN15function_traitsISD_E11result_typeE
	.p2align	8
	.type	_ZN12_GLOBAL__N_141elementwise_kernel_with_index_grid_strideIiZZZN2at6native14range_cuda_outERKN3c106ScalarES6_S6_RNS1_6TensorEENKUlvE_clEvENKUlvE3_clEvEUllE_EEvT_T0_PN15function_traitsISD_E11result_typeE,@function
_ZN12_GLOBAL__N_141elementwise_kernel_with_index_grid_strideIiZZZN2at6native14range_cuda_outERKN3c106ScalarES6_S6_RNS1_6TensorEENKUlvE_clEvENKUlvE3_clEvEUllE_EEvT_T0_PN15function_traitsISD_E11result_typeE: ; @_ZN12_GLOBAL__N_141elementwise_kernel_with_index_grid_strideIiZZZN2at6native14range_cuda_outERKN3c106ScalarES6_S6_RNS1_6TensorEENKUlvE_clEvENKUlvE3_clEvEUllE_EEvT_T0_PN15function_traitsISD_E11result_typeE
; %bb.0:
	s_load_dword s3, s[0:1], 0x2c
	s_load_dword s12, s[0:1], 0x0
	s_add_u32 s8, s0, 32
	s_addc_u32 s9, s1, 0
	s_waitcnt lgkmcnt(0)
	s_and_b32 s3, s3, 0xffff
	s_mul_i32 s4, s2, s3
	v_add_u32_e32 v2, s4, v0
	v_cmp_gt_i32_e32 vcc, s12, v2
	s_and_saveexec_b64 s[4:5], vcc
	s_cbranch_execz .LBB54_8
; %bb.1:
	s_load_dword s13, s[8:9], 0x0
	s_load_dwordx4 s[4:7], s[0:1], 0x8
	s_load_dwordx2 s[10:11], s[0:1], 0x18
	s_waitcnt lgkmcnt(0)
	s_mul_i32 s8, s13, s3
	v_cvt_f32_u32_e32 v1, s8
	s_add_i32 s0, s2, s13
	s_mul_i32 s0, s0, s3
	s_sub_i32 s2, 0, s8
	v_rcp_iflag_f32_e32 v1, v1
	v_add_u32_e32 v3, s0, v0
	v_mov_b32_e32 v4, s0
	v_max_i32_e32 v5, s12, v3
	v_mul_f32_e32 v1, 0x4f7ffffe, v1
	v_cvt_u32_f32_e32 v1, v1
	v_cmp_gt_i32_e32 vcc, s12, v3
	v_mul_lo_u32 v3, s2, v1
	s_nop 0
	v_addc_co_u32_e64 v0, s[0:1], v0, v4, vcc
	v_mul_hi_u32 v3, v1, v3
	v_sub_u32_e32 v0, v5, v0
	v_add_u32_e32 v1, v1, v3
	v_mul_hi_u32 v1, v0, v1
	v_mul_lo_u32 v3, v1, s8
	v_sub_u32_e32 v0, v0, v3
	v_add_u32_e32 v4, 1, v1
	v_cmp_le_u32_e64 s[0:1], s8, v0
	v_subrev_u32_e32 v3, s8, v0
	s_mov_b64 s[2:3], -1
	v_cndmask_b32_e64 v1, v1, v4, s[0:1]
	v_cndmask_b32_e64 v0, v0, v3, s[0:1]
	v_add_u32_e32 v3, 1, v1
	v_cmp_le_u32_e64 s[0:1], s8, v0
	s_nop 1
	v_cndmask_b32_e64 v0, v1, v3, s[0:1]
	v_addc_co_u32_e32 v0, vcc, 1, v0, vcc
	v_cmp_lt_u32_e32 vcc, 3, v0
	s_and_saveexec_b64 s[0:1], vcc
	s_cbranch_execz .LBB54_5
; %bb.2:
	v_add_u32_e32 v3, s8, v2
	v_mad_u64_u32 v[6:7], s[2:3], s8, 3, v[2:3]
	v_lshl_add_u32 v4, s8, 1, v2
	v_mov_b32_e32 v5, v6
	v_and_b32_e32 v1, -4, v0
	s_lshl_b32 s20, s8, 2
	v_mov_b64_e32 v[6:7], v[4:5]
	s_mov_b32 s9, s6
	s_mov_b32 s13, s6
	;; [unrolled: 1-line block ×11, first 2 shown]
	s_mov_b64 s[2:3], 0
	v_mov_b32_e32 v8, v1
	v_mov_b64_e32 v[4:5], v[2:3]
.LBB54_3:                               ; =>This Inner Loop Header: Depth=1
	v_add_u32_e32 v8, -4, v8
	v_ashrrev_i32_e32 v11, 31, v7
	v_mov_b32_e32 v10, v7
	v_ashrrev_i32_e32 v17, 31, v4
	v_mov_b32_e32 v16, v4
	v_mul_lo_u32 v3, s9, v4
	v_mul_lo_u32 v19, s15, v7
	v_cmp_eq_u32_e32 vcc, 0, v8
	v_ashrrev_i32_e32 v13, 31, v6
	v_mov_b32_e32 v12, v6
	v_ashrrev_i32_e32 v15, 31, v5
	v_mov_b32_e32 v14, v5
	v_mul_lo_u32 v9, s13, v5
	v_mul_lo_u32 v18, s14, v6
	v_add_u32_e32 v7, s23, v7
	v_add_u32_e32 v6, s22, v6
	;; [unrolled: 1-line block ×6, first 2 shown]
	v_lshl_add_u64 v[16:17], v[16:17], 1, s[10:11]
	v_lshl_add_u64 v[10:11], v[10:11], 1, s[10:11]
	s_or_b64 s[2:3], vcc, s[2:3]
	v_add_u32_e32 v18, s18, v18
	v_add_u32_e32 v9, s17, v9
	v_lshl_add_u64 v[14:15], v[14:15], 1, s[10:11]
	v_lshl_add_u64 v[12:13], v[12:13], 1, s[10:11]
	global_store_short v[16:17], v3, off
	global_store_short v[14:15], v9, off
	;; [unrolled: 1-line block ×4, first 2 shown]
	s_andn2_b64 exec, exec, s[2:3]
	s_cbranch_execnz .LBB54_3
; %bb.4:
	s_or_b64 exec, exec, s[2:3]
	v_mad_u64_u32 v[2:3], s[2:3], v1, s8, v[2:3]
	v_cmp_ne_u32_e32 vcc, v0, v1
	s_orn2_b64 s[2:3], vcc, exec
.LBB54_5:
	s_or_b64 exec, exec, s[0:1]
	s_and_b64 exec, exec, s[2:3]
	s_cbranch_execz .LBB54_8
; %bb.6:
	v_mov_b64_e32 v[4:5], s[4:5]
	s_ashr_i32 s9, s8, 31
	v_mad_u64_u32 v[4:5], s[2:3], s6, v2, v[4:5]
	v_ashrrev_i32_e32 v3, 31, v2
	s_mul_hi_u32 s2, s6, s8
	s_mul_i32 s3, s6, s9
	v_lshl_add_u64 v[0:1], v[2:3], 1, s[10:11]
	v_mul_lo_u32 v6, s7, v2
	v_mul_lo_u32 v3, s6, v3
	s_add_i32 s2, s2, s3
	s_mul_i32 s3, s7, s8
	s_lshl_b64 s[0:1], s[8:9], 1
	v_add3_u32 v5, v6, v5, v3
	s_add_i32 s3, s2, s3
	s_mul_i32 s2, s6, s8
	s_mov_b64 s[4:5], 0
.LBB54_7:                               ; =>This Inner Loop Header: Depth=1
	v_add_u32_e32 v2, s8, v2
	v_cmp_le_i32_e32 vcc, s12, v2
	global_store_short v[0:1], v4, off
	v_lshl_add_u64 v[0:1], v[0:1], 0, s[0:1]
	s_or_b64 s[4:5], vcc, s[4:5]
	v_lshl_add_u64 v[4:5], v[4:5], 0, s[2:3]
	s_andn2_b64 exec, exec, s[4:5]
	s_cbranch_execnz .LBB54_7
.LBB54_8:
	s_endpgm
	.section	.rodata,"a",@progbits
	.p2align	6, 0x0
	.amdhsa_kernel _ZN12_GLOBAL__N_141elementwise_kernel_with_index_grid_strideIiZZZN2at6native14range_cuda_outERKN3c106ScalarES6_S6_RNS1_6TensorEENKUlvE_clEvENKUlvE3_clEvEUllE_EEvT_T0_PN15function_traitsISD_E11result_typeE
		.amdhsa_group_segment_fixed_size 0
		.amdhsa_private_segment_fixed_size 0
		.amdhsa_kernarg_size 288
		.amdhsa_user_sgpr_count 2
		.amdhsa_user_sgpr_dispatch_ptr 0
		.amdhsa_user_sgpr_queue_ptr 0
		.amdhsa_user_sgpr_kernarg_segment_ptr 1
		.amdhsa_user_sgpr_dispatch_id 0
		.amdhsa_user_sgpr_kernarg_preload_length 0
		.amdhsa_user_sgpr_kernarg_preload_offset 0
		.amdhsa_user_sgpr_private_segment_size 0
		.amdhsa_uses_dynamic_stack 0
		.amdhsa_enable_private_segment 0
		.amdhsa_system_sgpr_workgroup_id_x 1
		.amdhsa_system_sgpr_workgroup_id_y 0
		.amdhsa_system_sgpr_workgroup_id_z 0
		.amdhsa_system_sgpr_workgroup_info 0
		.amdhsa_system_vgpr_workitem_id 0
		.amdhsa_next_free_vgpr 20
		.amdhsa_next_free_sgpr 24
		.amdhsa_accum_offset 20
		.amdhsa_reserve_vcc 1
		.amdhsa_float_round_mode_32 0
		.amdhsa_float_round_mode_16_64 0
		.amdhsa_float_denorm_mode_32 3
		.amdhsa_float_denorm_mode_16_64 3
		.amdhsa_dx10_clamp 1
		.amdhsa_ieee_mode 1
		.amdhsa_fp16_overflow 0
		.amdhsa_tg_split 0
		.amdhsa_exception_fp_ieee_invalid_op 0
		.amdhsa_exception_fp_denorm_src 0
		.amdhsa_exception_fp_ieee_div_zero 0
		.amdhsa_exception_fp_ieee_overflow 0
		.amdhsa_exception_fp_ieee_underflow 0
		.amdhsa_exception_fp_ieee_inexact 0
		.amdhsa_exception_int_div_zero 0
	.end_amdhsa_kernel
	.section	.text._ZN12_GLOBAL__N_141elementwise_kernel_with_index_grid_strideIiZZZN2at6native14range_cuda_outERKN3c106ScalarES6_S6_RNS1_6TensorEENKUlvE_clEvENKUlvE3_clEvEUllE_EEvT_T0_PN15function_traitsISD_E11result_typeE,"axG",@progbits,_ZN12_GLOBAL__N_141elementwise_kernel_with_index_grid_strideIiZZZN2at6native14range_cuda_outERKN3c106ScalarES6_S6_RNS1_6TensorEENKUlvE_clEvENKUlvE3_clEvEUllE_EEvT_T0_PN15function_traitsISD_E11result_typeE,comdat
.Lfunc_end54:
	.size	_ZN12_GLOBAL__N_141elementwise_kernel_with_index_grid_strideIiZZZN2at6native14range_cuda_outERKN3c106ScalarES6_S6_RNS1_6TensorEENKUlvE_clEvENKUlvE3_clEvEUllE_EEvT_T0_PN15function_traitsISD_E11result_typeE, .Lfunc_end54-_ZN12_GLOBAL__N_141elementwise_kernel_with_index_grid_strideIiZZZN2at6native14range_cuda_outERKN3c106ScalarES6_S6_RNS1_6TensorEENKUlvE_clEvENKUlvE3_clEvEUllE_EEvT_T0_PN15function_traitsISD_E11result_typeE
                                        ; -- End function
	.set _ZN12_GLOBAL__N_141elementwise_kernel_with_index_grid_strideIiZZZN2at6native14range_cuda_outERKN3c106ScalarES6_S6_RNS1_6TensorEENKUlvE_clEvENKUlvE3_clEvEUllE_EEvT_T0_PN15function_traitsISD_E11result_typeE.num_vgpr, 20
	.set _ZN12_GLOBAL__N_141elementwise_kernel_with_index_grid_strideIiZZZN2at6native14range_cuda_outERKN3c106ScalarES6_S6_RNS1_6TensorEENKUlvE_clEvENKUlvE3_clEvEUllE_EEvT_T0_PN15function_traitsISD_E11result_typeE.num_agpr, 0
	.set _ZN12_GLOBAL__N_141elementwise_kernel_with_index_grid_strideIiZZZN2at6native14range_cuda_outERKN3c106ScalarES6_S6_RNS1_6TensorEENKUlvE_clEvENKUlvE3_clEvEUllE_EEvT_T0_PN15function_traitsISD_E11result_typeE.numbered_sgpr, 24
	.set _ZN12_GLOBAL__N_141elementwise_kernel_with_index_grid_strideIiZZZN2at6native14range_cuda_outERKN3c106ScalarES6_S6_RNS1_6TensorEENKUlvE_clEvENKUlvE3_clEvEUllE_EEvT_T0_PN15function_traitsISD_E11result_typeE.num_named_barrier, 0
	.set _ZN12_GLOBAL__N_141elementwise_kernel_with_index_grid_strideIiZZZN2at6native14range_cuda_outERKN3c106ScalarES6_S6_RNS1_6TensorEENKUlvE_clEvENKUlvE3_clEvEUllE_EEvT_T0_PN15function_traitsISD_E11result_typeE.private_seg_size, 0
	.set _ZN12_GLOBAL__N_141elementwise_kernel_with_index_grid_strideIiZZZN2at6native14range_cuda_outERKN3c106ScalarES6_S6_RNS1_6TensorEENKUlvE_clEvENKUlvE3_clEvEUllE_EEvT_T0_PN15function_traitsISD_E11result_typeE.uses_vcc, 1
	.set _ZN12_GLOBAL__N_141elementwise_kernel_with_index_grid_strideIiZZZN2at6native14range_cuda_outERKN3c106ScalarES6_S6_RNS1_6TensorEENKUlvE_clEvENKUlvE3_clEvEUllE_EEvT_T0_PN15function_traitsISD_E11result_typeE.uses_flat_scratch, 0
	.set _ZN12_GLOBAL__N_141elementwise_kernel_with_index_grid_strideIiZZZN2at6native14range_cuda_outERKN3c106ScalarES6_S6_RNS1_6TensorEENKUlvE_clEvENKUlvE3_clEvEUllE_EEvT_T0_PN15function_traitsISD_E11result_typeE.has_dyn_sized_stack, 0
	.set _ZN12_GLOBAL__N_141elementwise_kernel_with_index_grid_strideIiZZZN2at6native14range_cuda_outERKN3c106ScalarES6_S6_RNS1_6TensorEENKUlvE_clEvENKUlvE3_clEvEUllE_EEvT_T0_PN15function_traitsISD_E11result_typeE.has_recursion, 0
	.set _ZN12_GLOBAL__N_141elementwise_kernel_with_index_grid_strideIiZZZN2at6native14range_cuda_outERKN3c106ScalarES6_S6_RNS1_6TensorEENKUlvE_clEvENKUlvE3_clEvEUllE_EEvT_T0_PN15function_traitsISD_E11result_typeE.has_indirect_call, 0
	.section	.AMDGPU.csdata,"",@progbits
; Kernel info:
; codeLenInByte = 704
; TotalNumSgprs: 30
; NumVgprs: 20
; NumAgprs: 0
; TotalNumVgprs: 20
; ScratchSize: 0
; MemoryBound: 0
; FloatMode: 240
; IeeeMode: 1
; LDSByteSize: 0 bytes/workgroup (compile time only)
; SGPRBlocks: 3
; VGPRBlocks: 2
; NumSGPRsForWavesPerEU: 30
; NumVGPRsForWavesPerEU: 20
; AccumOffset: 20
; Occupancy: 8
; WaveLimiterHint : 0
; COMPUTE_PGM_RSRC2:SCRATCH_EN: 0
; COMPUTE_PGM_RSRC2:USER_SGPR: 2
; COMPUTE_PGM_RSRC2:TRAP_HANDLER: 0
; COMPUTE_PGM_RSRC2:TGID_X_EN: 1
; COMPUTE_PGM_RSRC2:TGID_Y_EN: 0
; COMPUTE_PGM_RSRC2:TGID_Z_EN: 0
; COMPUTE_PGM_RSRC2:TIDIG_COMP_CNT: 0
; COMPUTE_PGM_RSRC3_GFX90A:ACCUM_OFFSET: 4
; COMPUTE_PGM_RSRC3_GFX90A:TG_SPLIT: 0
	.section	.text._ZN12_GLOBAL__N_141elementwise_kernel_with_index_grid_strideIlZZZN2at6native14range_cuda_outERKN3c106ScalarES6_S6_RNS1_6TensorEENKUlvE_clEvENKUlvE3_clEvEUllE_EEvT_T0_PN15function_traitsISD_E11result_typeE,"axG",@progbits,_ZN12_GLOBAL__N_141elementwise_kernel_with_index_grid_strideIlZZZN2at6native14range_cuda_outERKN3c106ScalarES6_S6_RNS1_6TensorEENKUlvE_clEvENKUlvE3_clEvEUllE_EEvT_T0_PN15function_traitsISD_E11result_typeE,comdat
	.globl	_ZN12_GLOBAL__N_141elementwise_kernel_with_index_grid_strideIlZZZN2at6native14range_cuda_outERKN3c106ScalarES6_S6_RNS1_6TensorEENKUlvE_clEvENKUlvE3_clEvEUllE_EEvT_T0_PN15function_traitsISD_E11result_typeE ; -- Begin function _ZN12_GLOBAL__N_141elementwise_kernel_with_index_grid_strideIlZZZN2at6native14range_cuda_outERKN3c106ScalarES6_S6_RNS1_6TensorEENKUlvE_clEvENKUlvE3_clEvEUllE_EEvT_T0_PN15function_traitsISD_E11result_typeE
	.p2align	8
	.type	_ZN12_GLOBAL__N_141elementwise_kernel_with_index_grid_strideIlZZZN2at6native14range_cuda_outERKN3c106ScalarES6_S6_RNS1_6TensorEENKUlvE_clEvENKUlvE3_clEvEUllE_EEvT_T0_PN15function_traitsISD_E11result_typeE,@function
_ZN12_GLOBAL__N_141elementwise_kernel_with_index_grid_strideIlZZZN2at6native14range_cuda_outERKN3c106ScalarES6_S6_RNS1_6TensorEENKUlvE_clEvENKUlvE3_clEvEUllE_EEvT_T0_PN15function_traitsISD_E11result_typeE: ; @_ZN12_GLOBAL__N_141elementwise_kernel_with_index_grid_strideIlZZZN2at6native14range_cuda_outERKN3c106ScalarES6_S6_RNS1_6TensorEENKUlvE_clEvENKUlvE3_clEvEUllE_EEvT_T0_PN15function_traitsISD_E11result_typeE
; %bb.0:
	s_load_dword s3, s[0:1], 0x2c
	s_load_dwordx8 s[4:11], s[0:1], 0x0
	s_add_u32 s0, s0, 32
	s_addc_u32 s1, s1, 0
	v_mov_b32_e32 v1, 0
	s_waitcnt lgkmcnt(0)
	s_and_b32 s28, s3, 0xffff
	v_mov_b32_e32 v2, s2
	v_mad_u64_u32 v[2:3], s[12:13], s28, v2, v[0:1]
	v_cmp_gt_i64_e32 vcc, s[4:5], v[2:3]
	s_and_saveexec_b64 s[12:13], vcc
	s_cbranch_execz .LBB55_14
; %bb.1:
	s_load_dword s29, s[0:1], 0x0
	v_mov_b32_e32 v4, s28
	s_mov_b32 s3, 0
	v_mov_b32_e32 v5, s3
	s_waitcnt lgkmcnt(0)
	s_add_u32 s0, s2, s29
	s_addc_u32 s1, 0, 0
	s_mul_i32 s2, s1, s28
	v_mad_u64_u32 v[6:7], s[0:1], s0, v4, v[0:1]
	v_add_u32_e32 v7, s2, v7
	v_cmp_gt_i64_e32 vcc, s[4:5], v[6:7]
	v_mov_b32_e32 v4, s4
	v_mov_b32_e32 v0, s5
	v_cndmask_b32_e32 v8, v6, v4, vcc
	v_cndmask_b32_e64 v4, 0, 1, vcc
	v_cndmask_b32_e32 v0, v7, v0, vcc
	v_lshl_add_u64 v[6:7], v[6:7], 0, v[4:5]
	v_sub_co_u32_e32 v6, vcc, v8, v6
	s_mul_hi_u32 s13, s28, s29
	s_nop 0
	v_subb_co_u32_e32 v7, vcc, v0, v7, vcc
	v_or_b32_e32 v9, s13, v7
	v_mov_b32_e32 v8, v1
	s_mul_i32 s12, s28, s29
	v_cmp_ne_u64_e32 vcc, 0, v[8:9]
                                        ; implicit-def: $vgpr0_vgpr1
	s_and_saveexec_b64 s[0:1], vcc
	s_xor_b64 s[2:3], exec, s[0:1]
	s_cbranch_execz .LBB55_3
; %bb.2:
	v_cvt_f32_u32_e32 v0, s12
	v_cvt_f32_u32_e32 v1, s13
	s_sub_u32 s14, 0, s12
	s_subb_u32 s15, 0, s13
	v_mov_b32_e32 v9, 0
	v_fmamk_f32 v0, v1, 0x4f800000, v0
	v_rcp_f32_e32 v0, v0
	s_nop 0
	v_mul_f32_e32 v0, 0x5f7ffffc, v0
	v_mul_f32_e32 v1, 0x2f800000, v0
	v_trunc_f32_e32 v1, v1
	v_fmamk_f32 v0, v1, 0xcf800000, v0
	v_cvt_u32_f32_e32 v1, v1
	v_cvt_u32_f32_e32 v0, v0
	v_readfirstlane_b32 s16, v1
	v_readfirstlane_b32 s0, v0
	s_mul_i32 s1, s14, s16
	s_mul_hi_u32 s18, s14, s0
	s_mul_i32 s17, s15, s0
	s_add_i32 s1, s18, s1
	s_mul_i32 s19, s14, s0
	s_add_i32 s1, s1, s17
	s_mul_i32 s18, s0, s1
	s_mul_hi_u32 s20, s0, s19
	s_mul_hi_u32 s17, s0, s1
	s_add_u32 s18, s20, s18
	s_addc_u32 s17, 0, s17
	s_mul_hi_u32 s21, s16, s19
	s_mul_i32 s19, s16, s19
	s_add_u32 s18, s18, s19
	s_mul_hi_u32 s20, s16, s1
	s_addc_u32 s17, s17, s21
	s_addc_u32 s18, s20, 0
	s_mul_i32 s1, s16, s1
	s_add_u32 s1, s17, s1
	s_addc_u32 s17, 0, s18
	s_add_u32 s18, s0, s1
	s_cselect_b64 s[0:1], -1, 0
	s_cmp_lg_u64 s[0:1], 0
	s_addc_u32 s16, s16, s17
	s_mul_i32 s0, s14, s16
	s_mul_hi_u32 s1, s14, s18
	s_add_i32 s0, s1, s0
	s_mul_i32 s15, s15, s18
	s_add_i32 s0, s0, s15
	s_mul_i32 s14, s14, s18
	s_mul_hi_u32 s15, s16, s14
	s_mul_i32 s17, s16, s14
	s_mul_i32 s20, s18, s0
	s_mul_hi_u32 s14, s18, s14
	s_mul_hi_u32 s19, s18, s0
	s_add_u32 s14, s14, s20
	s_addc_u32 s19, 0, s19
	s_add_u32 s14, s14, s17
	s_mul_hi_u32 s1, s16, s0
	s_addc_u32 s14, s19, s15
	s_addc_u32 s1, s1, 0
	s_mul_i32 s0, s16, s0
	s_add_u32 s0, s14, s0
	s_addc_u32 s14, 0, s1
	s_add_u32 s15, s18, s0
	s_cselect_b64 s[0:1], -1, 0
	s_cmp_lg_u64 s[0:1], 0
	s_addc_u32 s14, s16, s14
	v_mad_u64_u32 v[0:1], s[0:1], v6, s14, 0
	v_mul_hi_u32 v8, v6, s15
	v_lshl_add_u64 v[0:1], v[8:9], 0, v[0:1]
	v_mad_u64_u32 v[12:13], s[0:1], v7, s15, 0
	v_add_co_u32_e32 v0, vcc, v0, v12
	v_mad_u64_u32 v[10:11], s[0:1], v7, s14, 0
	s_nop 0
	v_addc_co_u32_e32 v8, vcc, v1, v13, vcc
	s_nop 1
	v_addc_co_u32_e32 v11, vcc, 0, v11, vcc
	v_lshl_add_u64 v[0:1], v[8:9], 0, v[10:11]
	v_mul_lo_u32 v10, s13, v0
	v_mul_lo_u32 v11, s12, v1
	v_mad_u64_u32 v[8:9], s[0:1], s12, v0, 0
	v_add3_u32 v12, v9, v11, v10
	v_sub_u32_e32 v9, v7, v12
	v_mov_b32_e32 v10, s13
	v_sub_co_u32_e32 v6, vcc, v6, v8
	s_nop 1
	v_subb_co_u32_e64 v8, s[0:1], v9, v10, vcc
	v_subrev_co_u32_e64 v9, s[0:1], s12, v6
	v_subb_co_u32_e32 v7, vcc, v7, v12, vcc
	s_nop 0
	v_subbrev_co_u32_e64 v8, s[0:1], 0, v8, s[0:1]
	v_cmp_le_u32_e64 s[0:1], s13, v8
	v_cmp_le_u32_e32 vcc, s13, v7
	s_nop 0
	v_cndmask_b32_e64 v10, 0, -1, s[0:1]
	v_cmp_le_u32_e64 s[0:1], s12, v9
	s_nop 1
	v_cndmask_b32_e64 v9, 0, -1, s[0:1]
	v_cmp_eq_u32_e64 s[0:1], s13, v8
	s_nop 1
	v_cndmask_b32_e64 v13, v10, v9, s[0:1]
	v_lshl_add_u64 v[8:9], v[0:1], 0, 2
	v_lshl_add_u64 v[10:11], v[0:1], 0, 1
	v_cmp_ne_u32_e64 s[0:1], 0, v13
	s_nop 1
	v_cndmask_b32_e64 v9, v11, v9, s[0:1]
	v_cndmask_b32_e64 v11, 0, -1, vcc
	v_cmp_le_u32_e32 vcc, s12, v6
	s_nop 1
	v_cndmask_b32_e64 v6, 0, -1, vcc
	v_cmp_eq_u32_e32 vcc, s13, v7
	s_nop 1
	v_cndmask_b32_e32 v6, v11, v6, vcc
	v_cmp_ne_u32_e32 vcc, 0, v6
	v_cndmask_b32_e64 v6, v10, v8, s[0:1]
	s_nop 0
	v_cndmask_b32_e32 v1, v1, v9, vcc
	v_cndmask_b32_e32 v0, v0, v6, vcc
                                        ; implicit-def: $vgpr6
.LBB55_3:
	s_andn2_saveexec_b64 s[0:1], s[2:3]
	s_cbranch_execz .LBB55_5
; %bb.4:
	v_cvt_f32_u32_e32 v0, s12
	s_sub_i32 s2, 0, s12
	v_rcp_iflag_f32_e32 v0, v0
	s_nop 0
	v_mul_f32_e32 v0, 0x4f7ffffe, v0
	v_cvt_u32_f32_e32 v0, v0
	v_mul_lo_u32 v1, s2, v0
	v_mul_hi_u32 v1, v0, v1
	v_add_u32_e32 v0, v0, v1
	v_mul_hi_u32 v0, v6, v0
	v_mul_lo_u32 v1, v0, s12
	v_sub_u32_e32 v1, v6, v1
	v_add_u32_e32 v7, 1, v0
	v_subrev_u32_e32 v6, s12, v1
	v_cmp_le_u32_e32 vcc, s12, v1
	s_nop 1
	v_cndmask_b32_e32 v1, v1, v6, vcc
	v_cndmask_b32_e32 v0, v0, v7, vcc
	v_add_u32_e32 v6, 1, v0
	v_cmp_le_u32_e32 vcc, s12, v1
	v_mov_b32_e32 v1, 0
	s_nop 0
	v_cndmask_b32_e32 v0, v0, v6, vcc
.LBB55_5:
	s_or_b64 exec, exec, s[0:1]
	v_lshl_add_u64 v[0:1], v[0:1], 0, v[4:5]
	v_lshl_add_u64 v[0:1], v[0:1], 0, 1
	v_cmp_lt_u64_e32 vcc, 3, v[0:1]
	s_mov_b64 s[2:3], 0
                                        ; implicit-def: $vgpr4_vgpr5
	s_and_saveexec_b64 s[0:1], vcc
	s_xor_b64 s[0:1], exec, s[0:1]
	s_cbranch_execnz .LBB55_8
; %bb.6:
	s_andn2_saveexec_b64 s[0:1], s[0:1]
	s_cbranch_execnz .LBB55_11
.LBB55_7:
	s_or_b64 exec, exec, s[0:1]
	s_and_b64 exec, exec, s[2:3]
	s_cbranch_execnz .LBB55_12
	s_branch .LBB55_14
.LBB55_8:
	v_mad_u64_u32 v[8:9], s[2:3], s12, 3, v[2:3]
	v_mov_b32_e32 v10, v9
	v_mad_u64_u32 v[6:7], s[2:3], s12, 2, v[2:3]
	v_mad_u64_u32 v[4:5], s[2:3], s12, 1, v[2:3]
	;; [unrolled: 1-line block ×3, first 2 shown]
	v_lshl_add_u32 v7, s13, 1, v7
	v_add_u32_e32 v5, s13, v5
	v_mov_b32_e32 v9, v10
	v_and_b32_e32 v12, -4, v0
	v_mov_b32_e32 v13, v1
	s_lshl_b64 s[14:15], s[12:13], 2
	s_mul_i32 s22, s13, 6
	s_mul_hi_u32 s23, s12, 6
	v_mov_b64_e32 v[10:11], v[8:9]
	s_mov_b32 s30, s8
	s_mov_b32 s31, s8
	;; [unrolled: 1-line block ×14, first 2 shown]
	s_lshl_b64 s[2:3], s[12:13], 1
	s_add_i32 s23, s23, s22
	s_mul_i32 s22, s12, 6
	v_lshl_add_u64 v[14:15], v[2:3], 1, s[10:11]
	s_lshl_b64 s[26:27], s[12:13], 3
	s_mov_b64 s[24:25], 0
	v_mov_b64_e32 v[16:17], v[12:13]
	v_mov_b64_e32 v[8:9], v[6:7]
	;; [unrolled: 1-line block ×4, first 2 shown]
.LBB55_9:                               ; =>This Inner Loop Header: Depth=1
	v_mul_lo_u32 v24, v4, s30
	v_lshl_add_u64 v[16:17], v[16:17], 0, -4
	v_mul_lo_u32 v25, v6, s31
	v_mul_lo_u32 v26, v8, s33
	;; [unrolled: 1-line block ×3, first 2 shown]
	v_add_u32_e32 v24, s35, v24
	v_cmp_eq_u64_e32 vcc, 0, v[16:17]
	v_lshl_add_u64 v[18:19], v[14:15], 0, s[2:3]
	v_lshl_add_u64 v[20:21], v[14:15], 0, s[14:15]
	;; [unrolled: 1-line block ×7, first 2 shown]
	v_add_u32_e32 v27, s38, v27
	v_add_u32_e32 v26, s37, v26
	;; [unrolled: 1-line block ×3, first 2 shown]
	global_store_short v[14:15], v24, off
	global_store_short v[18:19], v25, off
	;; [unrolled: 1-line block ×4, first 2 shown]
	s_or_b64 s[24:25], vcc, s[24:25]
	v_lshl_add_u64 v[14:15], v[14:15], 0, s[26:27]
	s_andn2_b64 exec, exec, s[24:25]
	s_cbranch_execnz .LBB55_9
; %bb.10:
	s_or_b64 exec, exec, s[24:25]
	v_mad_u64_u32 v[2:3], s[14:15], v12, s12, v[2:3]
	v_mul_lo_u32 v4, v12, s13
	v_mul_lo_u32 v5, v13, s12
	v_cmp_ne_u64_e32 vcc, v[0:1], v[12:13]
	v_add3_u32 v3, v5, v3, v4
	v_mov_b64_e32 v[4:5], s[2:3]
	s_and_b64 s[2:3], vcc, exec
	s_andn2_saveexec_b64 s[0:1], s[0:1]
	s_cbranch_execz .LBB55_7
.LBB55_11:
	s_lshl_b64 s[14:15], s[12:13], 1
	v_mov_b64_e32 v[4:5], s[14:15]
	s_or_b64 s[2:3], s[2:3], exec
	s_or_b64 exec, exec, s[0:1]
	s_and_b64 exec, exec, s[2:3]
	s_cbranch_execz .LBB55_14
.LBB55_12:
	v_mov_b64_e32 v[0:1], s[6:7]
	v_mad_u64_u32 v[0:1], s[0:1], v2, s8, v[0:1]
	s_mul_i32 s0, s9, s28
	s_mul_hi_u32 s1, s8, s28
	s_add_i32 s0, s1, s0
	s_mul_i32 s2, s8, s28
	v_mul_lo_u32 v6, v2, s9
	v_mul_lo_u32 v7, v3, s8
	s_mul_i32 s0, s0, s29
	s_mul_hi_u32 s1, s2, s29
	v_add3_u32 v1, v7, v1, v6
	s_add_i32 s1, s1, s0
	s_mul_i32 s0, s2, s29
	v_lshl_add_u64 v[6:7], v[2:3], 1, s[10:11]
	s_mov_b64 s[2:3], 0
.LBB55_13:                              ; =>This Inner Loop Header: Depth=1
	v_lshl_add_u64 v[2:3], v[2:3], 0, s[12:13]
	v_cmp_le_i64_e32 vcc, s[4:5], v[2:3]
	global_store_short v[6:7], v0, off
	v_lshl_add_u64 v[0:1], v[0:1], 0, s[0:1]
	s_or_b64 s[2:3], vcc, s[2:3]
	v_lshl_add_u64 v[6:7], v[6:7], 0, v[4:5]
	s_andn2_b64 exec, exec, s[2:3]
	s_cbranch_execnz .LBB55_13
.LBB55_14:
	s_endpgm
	.section	.rodata,"a",@progbits
	.p2align	6, 0x0
	.amdhsa_kernel _ZN12_GLOBAL__N_141elementwise_kernel_with_index_grid_strideIlZZZN2at6native14range_cuda_outERKN3c106ScalarES6_S6_RNS1_6TensorEENKUlvE_clEvENKUlvE3_clEvEUllE_EEvT_T0_PN15function_traitsISD_E11result_typeE
		.amdhsa_group_segment_fixed_size 0
		.amdhsa_private_segment_fixed_size 0
		.amdhsa_kernarg_size 288
		.amdhsa_user_sgpr_count 2
		.amdhsa_user_sgpr_dispatch_ptr 0
		.amdhsa_user_sgpr_queue_ptr 0
		.amdhsa_user_sgpr_kernarg_segment_ptr 1
		.amdhsa_user_sgpr_dispatch_id 0
		.amdhsa_user_sgpr_kernarg_preload_length 0
		.amdhsa_user_sgpr_kernarg_preload_offset 0
		.amdhsa_user_sgpr_private_segment_size 0
		.amdhsa_uses_dynamic_stack 0
		.amdhsa_enable_private_segment 0
		.amdhsa_system_sgpr_workgroup_id_x 1
		.amdhsa_system_sgpr_workgroup_id_y 0
		.amdhsa_system_sgpr_workgroup_id_z 0
		.amdhsa_system_sgpr_workgroup_info 0
		.amdhsa_system_vgpr_workitem_id 0
		.amdhsa_next_free_vgpr 28
		.amdhsa_next_free_sgpr 39
		.amdhsa_accum_offset 28
		.amdhsa_reserve_vcc 1
		.amdhsa_float_round_mode_32 0
		.amdhsa_float_round_mode_16_64 0
		.amdhsa_float_denorm_mode_32 3
		.amdhsa_float_denorm_mode_16_64 3
		.amdhsa_dx10_clamp 1
		.amdhsa_ieee_mode 1
		.amdhsa_fp16_overflow 0
		.amdhsa_tg_split 0
		.amdhsa_exception_fp_ieee_invalid_op 0
		.amdhsa_exception_fp_denorm_src 0
		.amdhsa_exception_fp_ieee_div_zero 0
		.amdhsa_exception_fp_ieee_overflow 0
		.amdhsa_exception_fp_ieee_underflow 0
		.amdhsa_exception_fp_ieee_inexact 0
		.amdhsa_exception_int_div_zero 0
	.end_amdhsa_kernel
	.section	.text._ZN12_GLOBAL__N_141elementwise_kernel_with_index_grid_strideIlZZZN2at6native14range_cuda_outERKN3c106ScalarES6_S6_RNS1_6TensorEENKUlvE_clEvENKUlvE3_clEvEUllE_EEvT_T0_PN15function_traitsISD_E11result_typeE,"axG",@progbits,_ZN12_GLOBAL__N_141elementwise_kernel_with_index_grid_strideIlZZZN2at6native14range_cuda_outERKN3c106ScalarES6_S6_RNS1_6TensorEENKUlvE_clEvENKUlvE3_clEvEUllE_EEvT_T0_PN15function_traitsISD_E11result_typeE,comdat
.Lfunc_end55:
	.size	_ZN12_GLOBAL__N_141elementwise_kernel_with_index_grid_strideIlZZZN2at6native14range_cuda_outERKN3c106ScalarES6_S6_RNS1_6TensorEENKUlvE_clEvENKUlvE3_clEvEUllE_EEvT_T0_PN15function_traitsISD_E11result_typeE, .Lfunc_end55-_ZN12_GLOBAL__N_141elementwise_kernel_with_index_grid_strideIlZZZN2at6native14range_cuda_outERKN3c106ScalarES6_S6_RNS1_6TensorEENKUlvE_clEvENKUlvE3_clEvEUllE_EEvT_T0_PN15function_traitsISD_E11result_typeE
                                        ; -- End function
	.set _ZN12_GLOBAL__N_141elementwise_kernel_with_index_grid_strideIlZZZN2at6native14range_cuda_outERKN3c106ScalarES6_S6_RNS1_6TensorEENKUlvE_clEvENKUlvE3_clEvEUllE_EEvT_T0_PN15function_traitsISD_E11result_typeE.num_vgpr, 28
	.set _ZN12_GLOBAL__N_141elementwise_kernel_with_index_grid_strideIlZZZN2at6native14range_cuda_outERKN3c106ScalarES6_S6_RNS1_6TensorEENKUlvE_clEvENKUlvE3_clEvEUllE_EEvT_T0_PN15function_traitsISD_E11result_typeE.num_agpr, 0
	.set _ZN12_GLOBAL__N_141elementwise_kernel_with_index_grid_strideIlZZZN2at6native14range_cuda_outERKN3c106ScalarES6_S6_RNS1_6TensorEENKUlvE_clEvENKUlvE3_clEvEUllE_EEvT_T0_PN15function_traitsISD_E11result_typeE.numbered_sgpr, 39
	.set _ZN12_GLOBAL__N_141elementwise_kernel_with_index_grid_strideIlZZZN2at6native14range_cuda_outERKN3c106ScalarES6_S6_RNS1_6TensorEENKUlvE_clEvENKUlvE3_clEvEUllE_EEvT_T0_PN15function_traitsISD_E11result_typeE.num_named_barrier, 0
	.set _ZN12_GLOBAL__N_141elementwise_kernel_with_index_grid_strideIlZZZN2at6native14range_cuda_outERKN3c106ScalarES6_S6_RNS1_6TensorEENKUlvE_clEvENKUlvE3_clEvEUllE_EEvT_T0_PN15function_traitsISD_E11result_typeE.private_seg_size, 0
	.set _ZN12_GLOBAL__N_141elementwise_kernel_with_index_grid_strideIlZZZN2at6native14range_cuda_outERKN3c106ScalarES6_S6_RNS1_6TensorEENKUlvE_clEvENKUlvE3_clEvEUllE_EEvT_T0_PN15function_traitsISD_E11result_typeE.uses_vcc, 1
	.set _ZN12_GLOBAL__N_141elementwise_kernel_with_index_grid_strideIlZZZN2at6native14range_cuda_outERKN3c106ScalarES6_S6_RNS1_6TensorEENKUlvE_clEvENKUlvE3_clEvEUllE_EEvT_T0_PN15function_traitsISD_E11result_typeE.uses_flat_scratch, 0
	.set _ZN12_GLOBAL__N_141elementwise_kernel_with_index_grid_strideIlZZZN2at6native14range_cuda_outERKN3c106ScalarES6_S6_RNS1_6TensorEENKUlvE_clEvENKUlvE3_clEvEUllE_EEvT_T0_PN15function_traitsISD_E11result_typeE.has_dyn_sized_stack, 0
	.set _ZN12_GLOBAL__N_141elementwise_kernel_with_index_grid_strideIlZZZN2at6native14range_cuda_outERKN3c106ScalarES6_S6_RNS1_6TensorEENKUlvE_clEvENKUlvE3_clEvEUllE_EEvT_T0_PN15function_traitsISD_E11result_typeE.has_recursion, 0
	.set _ZN12_GLOBAL__N_141elementwise_kernel_with_index_grid_strideIlZZZN2at6native14range_cuda_outERKN3c106ScalarES6_S6_RNS1_6TensorEENKUlvE_clEvENKUlvE3_clEvEUllE_EEvT_T0_PN15function_traitsISD_E11result_typeE.has_indirect_call, 0
	.section	.AMDGPU.csdata,"",@progbits
; Kernel info:
; codeLenInByte = 1512
; TotalNumSgprs: 45
; NumVgprs: 28
; NumAgprs: 0
; TotalNumVgprs: 28
; ScratchSize: 0
; MemoryBound: 0
; FloatMode: 240
; IeeeMode: 1
; LDSByteSize: 0 bytes/workgroup (compile time only)
; SGPRBlocks: 5
; VGPRBlocks: 3
; NumSGPRsForWavesPerEU: 45
; NumVGPRsForWavesPerEU: 28
; AccumOffset: 28
; Occupancy: 8
; WaveLimiterHint : 0
; COMPUTE_PGM_RSRC2:SCRATCH_EN: 0
; COMPUTE_PGM_RSRC2:USER_SGPR: 2
; COMPUTE_PGM_RSRC2:TRAP_HANDLER: 0
; COMPUTE_PGM_RSRC2:TGID_X_EN: 1
; COMPUTE_PGM_RSRC2:TGID_Y_EN: 0
; COMPUTE_PGM_RSRC2:TGID_Z_EN: 0
; COMPUTE_PGM_RSRC2:TIDIG_COMP_CNT: 0
; COMPUTE_PGM_RSRC3_GFX90A:ACCUM_OFFSET: 6
; COMPUTE_PGM_RSRC3_GFX90A:TG_SPLIT: 0
	.section	.text._ZN12_GLOBAL__N_141elementwise_kernel_with_index_grid_strideIiZZZN2at6native14range_cuda_outERKN3c106ScalarES6_S6_RNS1_6TensorEENKUlvE_clEvENKUlvE4_clEvEUllE_EEvT_T0_PN15function_traitsISD_E11result_typeE,"axG",@progbits,_ZN12_GLOBAL__N_141elementwise_kernel_with_index_grid_strideIiZZZN2at6native14range_cuda_outERKN3c106ScalarES6_S6_RNS1_6TensorEENKUlvE_clEvENKUlvE4_clEvEUllE_EEvT_T0_PN15function_traitsISD_E11result_typeE,comdat
	.globl	_ZN12_GLOBAL__N_141elementwise_kernel_with_index_grid_strideIiZZZN2at6native14range_cuda_outERKN3c106ScalarES6_S6_RNS1_6TensorEENKUlvE_clEvENKUlvE4_clEvEUllE_EEvT_T0_PN15function_traitsISD_E11result_typeE ; -- Begin function _ZN12_GLOBAL__N_141elementwise_kernel_with_index_grid_strideIiZZZN2at6native14range_cuda_outERKN3c106ScalarES6_S6_RNS1_6TensorEENKUlvE_clEvENKUlvE4_clEvEUllE_EEvT_T0_PN15function_traitsISD_E11result_typeE
	.p2align	8
	.type	_ZN12_GLOBAL__N_141elementwise_kernel_with_index_grid_strideIiZZZN2at6native14range_cuda_outERKN3c106ScalarES6_S6_RNS1_6TensorEENKUlvE_clEvENKUlvE4_clEvEUllE_EEvT_T0_PN15function_traitsISD_E11result_typeE,@function
_ZN12_GLOBAL__N_141elementwise_kernel_with_index_grid_strideIiZZZN2at6native14range_cuda_outERKN3c106ScalarES6_S6_RNS1_6TensorEENKUlvE_clEvENKUlvE4_clEvEUllE_EEvT_T0_PN15function_traitsISD_E11result_typeE: ; @_ZN12_GLOBAL__N_141elementwise_kernel_with_index_grid_strideIiZZZN2at6native14range_cuda_outERKN3c106ScalarES6_S6_RNS1_6TensorEENKUlvE_clEvENKUlvE4_clEvEUllE_EEvT_T0_PN15function_traitsISD_E11result_typeE
; %bb.0:
	s_load_dword s3, s[0:1], 0x2c
	s_load_dword s10, s[0:1], 0x0
	s_add_u32 s8, s0, 32
	s_addc_u32 s9, s1, 0
	s_waitcnt lgkmcnt(0)
	s_and_b32 s3, s3, 0xffff
	s_mul_i32 s2, s2, s3
	v_add_u32_e32 v0, s2, v0
	v_cmp_gt_i32_e32 vcc, s10, v0
	s_and_saveexec_b64 s[4:5], vcc
	s_cbranch_execz .LBB56_3
; %bb.1:
	s_load_dword s2, s[8:9], 0x0
	s_load_dwordx2 s[12:13], s[0:1], 0x18
	s_load_dwordx4 s[4:7], s[0:1], 0x8
	v_ashrrev_i32_e32 v1, 31, v0
	s_mov_b64 s[8:9], 0
	s_waitcnt lgkmcnt(0)
	s_mul_i32 s0, s2, s3
	s_ashr_i32 s1, s0, 31
	v_lshl_add_u64 v[2:3], v[0:1], 3, s[12:13]
	s_lshl_b64 s[2:3], s[0:1], 3
	v_mov_b64_e32 v[4:5], s[4:5]
.LBB56_2:                               ; =>This Inner Loop Header: Depth=1
	v_cvt_f64_i32_e32 v[6:7], v0
	v_add_u32_e32 v0, s0, v0
	v_fma_f64 v[6:7], s[6:7], v[6:7], v[4:5]
	v_cmp_le_i32_e32 vcc, s10, v0
	global_store_dwordx2 v[2:3], v[6:7], off
	s_or_b64 s[8:9], vcc, s[8:9]
	v_lshl_add_u64 v[2:3], v[2:3], 0, s[2:3]
	s_andn2_b64 exec, exec, s[8:9]
	s_cbranch_execnz .LBB56_2
.LBB56_3:
	s_endpgm
	.section	.rodata,"a",@progbits
	.p2align	6, 0x0
	.amdhsa_kernel _ZN12_GLOBAL__N_141elementwise_kernel_with_index_grid_strideIiZZZN2at6native14range_cuda_outERKN3c106ScalarES6_S6_RNS1_6TensorEENKUlvE_clEvENKUlvE4_clEvEUllE_EEvT_T0_PN15function_traitsISD_E11result_typeE
		.amdhsa_group_segment_fixed_size 0
		.amdhsa_private_segment_fixed_size 0
		.amdhsa_kernarg_size 288
		.amdhsa_user_sgpr_count 2
		.amdhsa_user_sgpr_dispatch_ptr 0
		.amdhsa_user_sgpr_queue_ptr 0
		.amdhsa_user_sgpr_kernarg_segment_ptr 1
		.amdhsa_user_sgpr_dispatch_id 0
		.amdhsa_user_sgpr_kernarg_preload_length 0
		.amdhsa_user_sgpr_kernarg_preload_offset 0
		.amdhsa_user_sgpr_private_segment_size 0
		.amdhsa_uses_dynamic_stack 0
		.amdhsa_enable_private_segment 0
		.amdhsa_system_sgpr_workgroup_id_x 1
		.amdhsa_system_sgpr_workgroup_id_y 0
		.amdhsa_system_sgpr_workgroup_id_z 0
		.amdhsa_system_sgpr_workgroup_info 0
		.amdhsa_system_vgpr_workitem_id 0
		.amdhsa_next_free_vgpr 8
		.amdhsa_next_free_sgpr 14
		.amdhsa_accum_offset 8
		.amdhsa_reserve_vcc 1
		.amdhsa_float_round_mode_32 0
		.amdhsa_float_round_mode_16_64 0
		.amdhsa_float_denorm_mode_32 3
		.amdhsa_float_denorm_mode_16_64 3
		.amdhsa_dx10_clamp 1
		.amdhsa_ieee_mode 1
		.amdhsa_fp16_overflow 0
		.amdhsa_tg_split 0
		.amdhsa_exception_fp_ieee_invalid_op 0
		.amdhsa_exception_fp_denorm_src 0
		.amdhsa_exception_fp_ieee_div_zero 0
		.amdhsa_exception_fp_ieee_overflow 0
		.amdhsa_exception_fp_ieee_underflow 0
		.amdhsa_exception_fp_ieee_inexact 0
		.amdhsa_exception_int_div_zero 0
	.end_amdhsa_kernel
	.section	.text._ZN12_GLOBAL__N_141elementwise_kernel_with_index_grid_strideIiZZZN2at6native14range_cuda_outERKN3c106ScalarES6_S6_RNS1_6TensorEENKUlvE_clEvENKUlvE4_clEvEUllE_EEvT_T0_PN15function_traitsISD_E11result_typeE,"axG",@progbits,_ZN12_GLOBAL__N_141elementwise_kernel_with_index_grid_strideIiZZZN2at6native14range_cuda_outERKN3c106ScalarES6_S6_RNS1_6TensorEENKUlvE_clEvENKUlvE4_clEvEUllE_EEvT_T0_PN15function_traitsISD_E11result_typeE,comdat
.Lfunc_end56:
	.size	_ZN12_GLOBAL__N_141elementwise_kernel_with_index_grid_strideIiZZZN2at6native14range_cuda_outERKN3c106ScalarES6_S6_RNS1_6TensorEENKUlvE_clEvENKUlvE4_clEvEUllE_EEvT_T0_PN15function_traitsISD_E11result_typeE, .Lfunc_end56-_ZN12_GLOBAL__N_141elementwise_kernel_with_index_grid_strideIiZZZN2at6native14range_cuda_outERKN3c106ScalarES6_S6_RNS1_6TensorEENKUlvE_clEvENKUlvE4_clEvEUllE_EEvT_T0_PN15function_traitsISD_E11result_typeE
                                        ; -- End function
	.set _ZN12_GLOBAL__N_141elementwise_kernel_with_index_grid_strideIiZZZN2at6native14range_cuda_outERKN3c106ScalarES6_S6_RNS1_6TensorEENKUlvE_clEvENKUlvE4_clEvEUllE_EEvT_T0_PN15function_traitsISD_E11result_typeE.num_vgpr, 8
	.set _ZN12_GLOBAL__N_141elementwise_kernel_with_index_grid_strideIiZZZN2at6native14range_cuda_outERKN3c106ScalarES6_S6_RNS1_6TensorEENKUlvE_clEvENKUlvE4_clEvEUllE_EEvT_T0_PN15function_traitsISD_E11result_typeE.num_agpr, 0
	.set _ZN12_GLOBAL__N_141elementwise_kernel_with_index_grid_strideIiZZZN2at6native14range_cuda_outERKN3c106ScalarES6_S6_RNS1_6TensorEENKUlvE_clEvENKUlvE4_clEvEUllE_EEvT_T0_PN15function_traitsISD_E11result_typeE.numbered_sgpr, 14
	.set _ZN12_GLOBAL__N_141elementwise_kernel_with_index_grid_strideIiZZZN2at6native14range_cuda_outERKN3c106ScalarES6_S6_RNS1_6TensorEENKUlvE_clEvENKUlvE4_clEvEUllE_EEvT_T0_PN15function_traitsISD_E11result_typeE.num_named_barrier, 0
	.set _ZN12_GLOBAL__N_141elementwise_kernel_with_index_grid_strideIiZZZN2at6native14range_cuda_outERKN3c106ScalarES6_S6_RNS1_6TensorEENKUlvE_clEvENKUlvE4_clEvEUllE_EEvT_T0_PN15function_traitsISD_E11result_typeE.private_seg_size, 0
	.set _ZN12_GLOBAL__N_141elementwise_kernel_with_index_grid_strideIiZZZN2at6native14range_cuda_outERKN3c106ScalarES6_S6_RNS1_6TensorEENKUlvE_clEvENKUlvE4_clEvEUllE_EEvT_T0_PN15function_traitsISD_E11result_typeE.uses_vcc, 1
	.set _ZN12_GLOBAL__N_141elementwise_kernel_with_index_grid_strideIiZZZN2at6native14range_cuda_outERKN3c106ScalarES6_S6_RNS1_6TensorEENKUlvE_clEvENKUlvE4_clEvEUllE_EEvT_T0_PN15function_traitsISD_E11result_typeE.uses_flat_scratch, 0
	.set _ZN12_GLOBAL__N_141elementwise_kernel_with_index_grid_strideIiZZZN2at6native14range_cuda_outERKN3c106ScalarES6_S6_RNS1_6TensorEENKUlvE_clEvENKUlvE4_clEvEUllE_EEvT_T0_PN15function_traitsISD_E11result_typeE.has_dyn_sized_stack, 0
	.set _ZN12_GLOBAL__N_141elementwise_kernel_with_index_grid_strideIiZZZN2at6native14range_cuda_outERKN3c106ScalarES6_S6_RNS1_6TensorEENKUlvE_clEvENKUlvE4_clEvEUllE_EEvT_T0_PN15function_traitsISD_E11result_typeE.has_recursion, 0
	.set _ZN12_GLOBAL__N_141elementwise_kernel_with_index_grid_strideIiZZZN2at6native14range_cuda_outERKN3c106ScalarES6_S6_RNS1_6TensorEENKUlvE_clEvENKUlvE4_clEvEUllE_EEvT_T0_PN15function_traitsISD_E11result_typeE.has_indirect_call, 0
	.section	.AMDGPU.csdata,"",@progbits
; Kernel info:
; codeLenInByte = 168
; TotalNumSgprs: 20
; NumVgprs: 8
; NumAgprs: 0
; TotalNumVgprs: 8
; ScratchSize: 0
; MemoryBound: 0
; FloatMode: 240
; IeeeMode: 1
; LDSByteSize: 0 bytes/workgroup (compile time only)
; SGPRBlocks: 2
; VGPRBlocks: 0
; NumSGPRsForWavesPerEU: 20
; NumVGPRsForWavesPerEU: 8
; AccumOffset: 8
; Occupancy: 8
; WaveLimiterHint : 0
; COMPUTE_PGM_RSRC2:SCRATCH_EN: 0
; COMPUTE_PGM_RSRC2:USER_SGPR: 2
; COMPUTE_PGM_RSRC2:TRAP_HANDLER: 0
; COMPUTE_PGM_RSRC2:TGID_X_EN: 1
; COMPUTE_PGM_RSRC2:TGID_Y_EN: 0
; COMPUTE_PGM_RSRC2:TGID_Z_EN: 0
; COMPUTE_PGM_RSRC2:TIDIG_COMP_CNT: 0
; COMPUTE_PGM_RSRC3_GFX90A:ACCUM_OFFSET: 1
; COMPUTE_PGM_RSRC3_GFX90A:TG_SPLIT: 0
	.section	.text._ZN12_GLOBAL__N_141elementwise_kernel_with_index_grid_strideIlZZZN2at6native14range_cuda_outERKN3c106ScalarES6_S6_RNS1_6TensorEENKUlvE_clEvENKUlvE4_clEvEUllE_EEvT_T0_PN15function_traitsISD_E11result_typeE,"axG",@progbits,_ZN12_GLOBAL__N_141elementwise_kernel_with_index_grid_strideIlZZZN2at6native14range_cuda_outERKN3c106ScalarES6_S6_RNS1_6TensorEENKUlvE_clEvENKUlvE4_clEvEUllE_EEvT_T0_PN15function_traitsISD_E11result_typeE,comdat
	.globl	_ZN12_GLOBAL__N_141elementwise_kernel_with_index_grid_strideIlZZZN2at6native14range_cuda_outERKN3c106ScalarES6_S6_RNS1_6TensorEENKUlvE_clEvENKUlvE4_clEvEUllE_EEvT_T0_PN15function_traitsISD_E11result_typeE ; -- Begin function _ZN12_GLOBAL__N_141elementwise_kernel_with_index_grid_strideIlZZZN2at6native14range_cuda_outERKN3c106ScalarES6_S6_RNS1_6TensorEENKUlvE_clEvENKUlvE4_clEvEUllE_EEvT_T0_PN15function_traitsISD_E11result_typeE
	.p2align	8
	.type	_ZN12_GLOBAL__N_141elementwise_kernel_with_index_grid_strideIlZZZN2at6native14range_cuda_outERKN3c106ScalarES6_S6_RNS1_6TensorEENKUlvE_clEvENKUlvE4_clEvEUllE_EEvT_T0_PN15function_traitsISD_E11result_typeE,@function
_ZN12_GLOBAL__N_141elementwise_kernel_with_index_grid_strideIlZZZN2at6native14range_cuda_outERKN3c106ScalarES6_S6_RNS1_6TensorEENKUlvE_clEvENKUlvE4_clEvEUllE_EEvT_T0_PN15function_traitsISD_E11result_typeE: ; @_ZN12_GLOBAL__N_141elementwise_kernel_with_index_grid_strideIlZZZN2at6native14range_cuda_outERKN3c106ScalarES6_S6_RNS1_6TensorEENKUlvE_clEvENKUlvE4_clEvEUllE_EEvT_T0_PN15function_traitsISD_E11result_typeE
; %bb.0:
	s_load_dword s3, s[0:1], 0x2c
	s_load_dwordx8 s[4:11], s[0:1], 0x0
	s_add_u32 s0, s0, 32
	s_addc_u32 s1, s1, 0
	v_mov_b32_e32 v1, 0
	s_waitcnt lgkmcnt(0)
	s_and_b32 s3, s3, 0xffff
	v_mov_b32_e32 v2, s2
	v_mad_u64_u32 v[0:1], s[12:13], s3, v2, v[0:1]
	v_cmp_gt_i64_e32 vcc, s[4:5], v[0:1]
	s_and_saveexec_b64 s[12:13], vcc
	s_cbranch_execz .LBB57_3
; %bb.1:
	s_load_dword s0, s[0:1], 0x0
	v_mov_b32_e32 v2, s10
	v_mov_b32_e32 v3, s11
	v_lshl_add_u64 v[2:3], v[0:1], 3, v[2:3]
	s_mov_b64 s[10:11], 0
	s_waitcnt lgkmcnt(0)
	s_mul_hi_u32 s1, s3, s0
	s_mul_i32 s0, s3, s0
	s_lshl_b64 s[2:3], s[0:1], 3
	v_mov_b64_e32 v[4:5], s[6:7]
.LBB57_2:                               ; =>This Inner Loop Header: Depth=1
	v_cvt_f64_u32_e32 v[6:7], v1
	v_cvt_f64_u32_e32 v[8:9], v0
	v_ldexp_f64 v[6:7], v[6:7], 32
	v_lshl_add_u64 v[0:1], v[0:1], 0, s[0:1]
	v_add_f64 v[6:7], v[6:7], v[8:9]
	v_cmp_le_i64_e32 vcc, s[4:5], v[0:1]
	v_fma_f64 v[6:7], s[8:9], v[6:7], v[4:5]
	s_or_b64 s[10:11], vcc, s[10:11]
	global_store_dwordx2 v[2:3], v[6:7], off
	v_lshl_add_u64 v[2:3], v[2:3], 0, s[2:3]
	s_andn2_b64 exec, exec, s[10:11]
	s_cbranch_execnz .LBB57_2
.LBB57_3:
	s_endpgm
	.section	.rodata,"a",@progbits
	.p2align	6, 0x0
	.amdhsa_kernel _ZN12_GLOBAL__N_141elementwise_kernel_with_index_grid_strideIlZZZN2at6native14range_cuda_outERKN3c106ScalarES6_S6_RNS1_6TensorEENKUlvE_clEvENKUlvE4_clEvEUllE_EEvT_T0_PN15function_traitsISD_E11result_typeE
		.amdhsa_group_segment_fixed_size 0
		.amdhsa_private_segment_fixed_size 0
		.amdhsa_kernarg_size 288
		.amdhsa_user_sgpr_count 2
		.amdhsa_user_sgpr_dispatch_ptr 0
		.amdhsa_user_sgpr_queue_ptr 0
		.amdhsa_user_sgpr_kernarg_segment_ptr 1
		.amdhsa_user_sgpr_dispatch_id 0
		.amdhsa_user_sgpr_kernarg_preload_length 0
		.amdhsa_user_sgpr_kernarg_preload_offset 0
		.amdhsa_user_sgpr_private_segment_size 0
		.amdhsa_uses_dynamic_stack 0
		.amdhsa_enable_private_segment 0
		.amdhsa_system_sgpr_workgroup_id_x 1
		.amdhsa_system_sgpr_workgroup_id_y 0
		.amdhsa_system_sgpr_workgroup_id_z 0
		.amdhsa_system_sgpr_workgroup_info 0
		.amdhsa_system_vgpr_workitem_id 0
		.amdhsa_next_free_vgpr 10
		.amdhsa_next_free_sgpr 14
		.amdhsa_accum_offset 12
		.amdhsa_reserve_vcc 1
		.amdhsa_float_round_mode_32 0
		.amdhsa_float_round_mode_16_64 0
		.amdhsa_float_denorm_mode_32 3
		.amdhsa_float_denorm_mode_16_64 3
		.amdhsa_dx10_clamp 1
		.amdhsa_ieee_mode 1
		.amdhsa_fp16_overflow 0
		.amdhsa_tg_split 0
		.amdhsa_exception_fp_ieee_invalid_op 0
		.amdhsa_exception_fp_denorm_src 0
		.amdhsa_exception_fp_ieee_div_zero 0
		.amdhsa_exception_fp_ieee_overflow 0
		.amdhsa_exception_fp_ieee_underflow 0
		.amdhsa_exception_fp_ieee_inexact 0
		.amdhsa_exception_int_div_zero 0
	.end_amdhsa_kernel
	.section	.text._ZN12_GLOBAL__N_141elementwise_kernel_with_index_grid_strideIlZZZN2at6native14range_cuda_outERKN3c106ScalarES6_S6_RNS1_6TensorEENKUlvE_clEvENKUlvE4_clEvEUllE_EEvT_T0_PN15function_traitsISD_E11result_typeE,"axG",@progbits,_ZN12_GLOBAL__N_141elementwise_kernel_with_index_grid_strideIlZZZN2at6native14range_cuda_outERKN3c106ScalarES6_S6_RNS1_6TensorEENKUlvE_clEvENKUlvE4_clEvEUllE_EEvT_T0_PN15function_traitsISD_E11result_typeE,comdat
.Lfunc_end57:
	.size	_ZN12_GLOBAL__N_141elementwise_kernel_with_index_grid_strideIlZZZN2at6native14range_cuda_outERKN3c106ScalarES6_S6_RNS1_6TensorEENKUlvE_clEvENKUlvE4_clEvEUllE_EEvT_T0_PN15function_traitsISD_E11result_typeE, .Lfunc_end57-_ZN12_GLOBAL__N_141elementwise_kernel_with_index_grid_strideIlZZZN2at6native14range_cuda_outERKN3c106ScalarES6_S6_RNS1_6TensorEENKUlvE_clEvENKUlvE4_clEvEUllE_EEvT_T0_PN15function_traitsISD_E11result_typeE
                                        ; -- End function
	.set _ZN12_GLOBAL__N_141elementwise_kernel_with_index_grid_strideIlZZZN2at6native14range_cuda_outERKN3c106ScalarES6_S6_RNS1_6TensorEENKUlvE_clEvENKUlvE4_clEvEUllE_EEvT_T0_PN15function_traitsISD_E11result_typeE.num_vgpr, 10
	.set _ZN12_GLOBAL__N_141elementwise_kernel_with_index_grid_strideIlZZZN2at6native14range_cuda_outERKN3c106ScalarES6_S6_RNS1_6TensorEENKUlvE_clEvENKUlvE4_clEvEUllE_EEvT_T0_PN15function_traitsISD_E11result_typeE.num_agpr, 0
	.set _ZN12_GLOBAL__N_141elementwise_kernel_with_index_grid_strideIlZZZN2at6native14range_cuda_outERKN3c106ScalarES6_S6_RNS1_6TensorEENKUlvE_clEvENKUlvE4_clEvEUllE_EEvT_T0_PN15function_traitsISD_E11result_typeE.numbered_sgpr, 14
	.set _ZN12_GLOBAL__N_141elementwise_kernel_with_index_grid_strideIlZZZN2at6native14range_cuda_outERKN3c106ScalarES6_S6_RNS1_6TensorEENKUlvE_clEvENKUlvE4_clEvEUllE_EEvT_T0_PN15function_traitsISD_E11result_typeE.num_named_barrier, 0
	.set _ZN12_GLOBAL__N_141elementwise_kernel_with_index_grid_strideIlZZZN2at6native14range_cuda_outERKN3c106ScalarES6_S6_RNS1_6TensorEENKUlvE_clEvENKUlvE4_clEvEUllE_EEvT_T0_PN15function_traitsISD_E11result_typeE.private_seg_size, 0
	.set _ZN12_GLOBAL__N_141elementwise_kernel_with_index_grid_strideIlZZZN2at6native14range_cuda_outERKN3c106ScalarES6_S6_RNS1_6TensorEENKUlvE_clEvENKUlvE4_clEvEUllE_EEvT_T0_PN15function_traitsISD_E11result_typeE.uses_vcc, 1
	.set _ZN12_GLOBAL__N_141elementwise_kernel_with_index_grid_strideIlZZZN2at6native14range_cuda_outERKN3c106ScalarES6_S6_RNS1_6TensorEENKUlvE_clEvENKUlvE4_clEvEUllE_EEvT_T0_PN15function_traitsISD_E11result_typeE.uses_flat_scratch, 0
	.set _ZN12_GLOBAL__N_141elementwise_kernel_with_index_grid_strideIlZZZN2at6native14range_cuda_outERKN3c106ScalarES6_S6_RNS1_6TensorEENKUlvE_clEvENKUlvE4_clEvEUllE_EEvT_T0_PN15function_traitsISD_E11result_typeE.has_dyn_sized_stack, 0
	.set _ZN12_GLOBAL__N_141elementwise_kernel_with_index_grid_strideIlZZZN2at6native14range_cuda_outERKN3c106ScalarES6_S6_RNS1_6TensorEENKUlvE_clEvENKUlvE4_clEvEUllE_EEvT_T0_PN15function_traitsISD_E11result_typeE.has_recursion, 0
	.set _ZN12_GLOBAL__N_141elementwise_kernel_with_index_grid_strideIlZZZN2at6native14range_cuda_outERKN3c106ScalarES6_S6_RNS1_6TensorEENKUlvE_clEvENKUlvE4_clEvEUllE_EEvT_T0_PN15function_traitsISD_E11result_typeE.has_indirect_call, 0
	.section	.AMDGPU.csdata,"",@progbits
; Kernel info:
; codeLenInByte = 188
; TotalNumSgprs: 20
; NumVgprs: 10
; NumAgprs: 0
; TotalNumVgprs: 10
; ScratchSize: 0
; MemoryBound: 0
; FloatMode: 240
; IeeeMode: 1
; LDSByteSize: 0 bytes/workgroup (compile time only)
; SGPRBlocks: 2
; VGPRBlocks: 1
; NumSGPRsForWavesPerEU: 20
; NumVGPRsForWavesPerEU: 10
; AccumOffset: 12
; Occupancy: 8
; WaveLimiterHint : 0
; COMPUTE_PGM_RSRC2:SCRATCH_EN: 0
; COMPUTE_PGM_RSRC2:USER_SGPR: 2
; COMPUTE_PGM_RSRC2:TRAP_HANDLER: 0
; COMPUTE_PGM_RSRC2:TGID_X_EN: 1
; COMPUTE_PGM_RSRC2:TGID_Y_EN: 0
; COMPUTE_PGM_RSRC2:TGID_Z_EN: 0
; COMPUTE_PGM_RSRC2:TIDIG_COMP_CNT: 0
; COMPUTE_PGM_RSRC3_GFX90A:ACCUM_OFFSET: 2
; COMPUTE_PGM_RSRC3_GFX90A:TG_SPLIT: 0
	.section	.text._ZN12_GLOBAL__N_141elementwise_kernel_with_index_grid_strideIiZZZN2at6native14range_cuda_outERKN3c106ScalarES6_S6_RNS1_6TensorEENKUlvE_clEvENKUlvE5_clEvEUllE_EEvT_T0_PN15function_traitsISD_E11result_typeE,"axG",@progbits,_ZN12_GLOBAL__N_141elementwise_kernel_with_index_grid_strideIiZZZN2at6native14range_cuda_outERKN3c106ScalarES6_S6_RNS1_6TensorEENKUlvE_clEvENKUlvE5_clEvEUllE_EEvT_T0_PN15function_traitsISD_E11result_typeE,comdat
	.globl	_ZN12_GLOBAL__N_141elementwise_kernel_with_index_grid_strideIiZZZN2at6native14range_cuda_outERKN3c106ScalarES6_S6_RNS1_6TensorEENKUlvE_clEvENKUlvE5_clEvEUllE_EEvT_T0_PN15function_traitsISD_E11result_typeE ; -- Begin function _ZN12_GLOBAL__N_141elementwise_kernel_with_index_grid_strideIiZZZN2at6native14range_cuda_outERKN3c106ScalarES6_S6_RNS1_6TensorEENKUlvE_clEvENKUlvE5_clEvEUllE_EEvT_T0_PN15function_traitsISD_E11result_typeE
	.p2align	8
	.type	_ZN12_GLOBAL__N_141elementwise_kernel_with_index_grid_strideIiZZZN2at6native14range_cuda_outERKN3c106ScalarES6_S6_RNS1_6TensorEENKUlvE_clEvENKUlvE5_clEvEUllE_EEvT_T0_PN15function_traitsISD_E11result_typeE,@function
_ZN12_GLOBAL__N_141elementwise_kernel_with_index_grid_strideIiZZZN2at6native14range_cuda_outERKN3c106ScalarES6_S6_RNS1_6TensorEENKUlvE_clEvENKUlvE5_clEvEUllE_EEvT_T0_PN15function_traitsISD_E11result_typeE: ; @_ZN12_GLOBAL__N_141elementwise_kernel_with_index_grid_strideIiZZZN2at6native14range_cuda_outERKN3c106ScalarES6_S6_RNS1_6TensorEENKUlvE_clEvENKUlvE5_clEvEUllE_EEvT_T0_PN15function_traitsISD_E11result_typeE
; %bb.0:
	s_load_dword s3, s[0:1], 0x24
	s_load_dwordx4 s[4:7], s[0:1], 0x0
	s_add_u32 s8, s0, 24
	s_addc_u32 s9, s1, 0
	s_waitcnt lgkmcnt(0)
	s_and_b32 s3, s3, 0xffff
	s_mul_i32 s7, s2, s3
	v_add_u32_e32 v2, s7, v0
	v_cmp_gt_i32_e32 vcc, s4, v2
	s_and_saveexec_b64 s[10:11], vcc
	s_cbranch_execz .LBB58_8
; %bb.1:
	s_load_dword s7, s[8:9], 0x0
	s_load_dwordx2 s[10:11], s[0:1], 0x10
	s_waitcnt lgkmcnt(0)
	s_mul_i32 s8, s7, s3
	v_cvt_f32_u32_e32 v1, s8
	s_add_i32 s0, s2, s7
	s_mul_i32 s0, s0, s3
	s_sub_i32 s2, 0, s8
	v_rcp_iflag_f32_e32 v1, v1
	v_add_u32_e32 v3, s0, v0
	v_mov_b32_e32 v4, s0
	v_max_i32_e32 v5, s4, v3
	v_mul_f32_e32 v1, 0x4f7ffffe, v1
	v_cvt_u32_f32_e32 v1, v1
	v_cmp_gt_i32_e32 vcc, s4, v3
	v_mul_lo_u32 v3, s2, v1
	s_nop 0
	v_addc_co_u32_e64 v0, s[0:1], v0, v4, vcc
	v_mul_hi_u32 v3, v1, v3
	v_sub_u32_e32 v0, v5, v0
	v_add_u32_e32 v1, v1, v3
	v_mul_hi_u32 v1, v0, v1
	v_mul_lo_u32 v3, v1, s8
	v_sub_u32_e32 v0, v0, v3
	v_add_u32_e32 v4, 1, v1
	v_cmp_le_u32_e64 s[0:1], s8, v0
	v_subrev_u32_e32 v3, s8, v0
	s_mov_b64 s[2:3], -1
	v_cndmask_b32_e64 v1, v1, v4, s[0:1]
	v_cndmask_b32_e64 v0, v0, v3, s[0:1]
	v_add_u32_e32 v3, 1, v1
	v_cmp_le_u32_e64 s[0:1], s8, v0
	s_nop 1
	v_cndmask_b32_e64 v0, v1, v3, s[0:1]
	v_addc_co_u32_e32 v6, vcc, 1, v0, vcc
	v_cmp_lt_u32_e32 vcc, 1, v6
	s_and_saveexec_b64 s[0:1], vcc
	s_cbranch_execz .LBB58_5
; %bb.2:
	v_and_b32_e32 v7, -2, v6
	s_mov_b32 s14, s5
	s_mov_b32 s15, s5
	v_add_u32_e32 v3, s8, v2
	s_lshl_b32 s9, s8, 1
	s_mov_b32 s7, s6
	s_mov_b32 s12, s9
	s_mov_b64 s[2:3], 0
	v_mov_b64_e32 v[0:1], s[14:15]
	v_mov_b32_e32 v8, v7
	v_mov_b64_e32 v[4:5], v[2:3]
.LBB58_3:                               ; =>This Inner Loop Header: Depth=1
	v_cvt_f32_i32_e32 v15, v5
	v_cvt_f32_i32_e32 v14, v4
	v_add_u32_e32 v8, -2, v8
	v_ashrrev_i32_e32 v13, 31, v4
	v_mov_b32_e32 v12, v4
	v_cmp_eq_u32_e32 vcc, 0, v8
	v_ashrrev_i32_e32 v11, 31, v5
	v_mov_b32_e32 v10, v5
	v_add_u32_e32 v5, s12, v5
	v_add_u32_e32 v4, s9, v4
	v_lshl_add_u64 v[12:13], v[12:13], 2, s[10:11]
	s_or_b64 s[2:3], vcc, s[2:3]
	v_pk_fma_f32 v[14:15], s[6:7], v[14:15], v[0:1]
	v_lshl_add_u64 v[10:11], v[10:11], 2, s[10:11]
	global_store_dword v[12:13], v14, off
	global_store_dword v[10:11], v15, off
	s_andn2_b64 exec, exec, s[2:3]
	s_cbranch_execnz .LBB58_3
; %bb.4:
	s_or_b64 exec, exec, s[2:3]
	v_mad_u64_u32 v[2:3], s[2:3], v7, s8, v[2:3]
	v_cmp_ne_u32_e32 vcc, v6, v7
	s_orn2_b64 s[2:3], vcc, exec
.LBB58_5:
	s_or_b64 exec, exec, s[0:1]
	s_and_b64 exec, exec, s[2:3]
	s_cbranch_execz .LBB58_8
; %bb.6:
	v_ashrrev_i32_e32 v3, 31, v2
	s_ashr_i32 s9, s8, 31
	v_lshl_add_u64 v[0:1], v[2:3], 2, s[10:11]
	s_lshl_b64 s[0:1], s[8:9], 2
	s_mov_b64 s[2:3], 0
	v_mov_b32_e32 v3, s5
.LBB58_7:                               ; =>This Inner Loop Header: Depth=1
	v_cvt_f32_i32_e32 v4, v2
	v_add_u32_e32 v2, s8, v2
	v_cmp_le_i32_e32 vcc, s4, v2
	s_or_b64 s[2:3], vcc, s[2:3]
	v_fma_f32 v4, s6, v4, v3
	global_store_dword v[0:1], v4, off
	v_lshl_add_u64 v[0:1], v[0:1], 0, s[0:1]
	s_andn2_b64 exec, exec, s[2:3]
	s_cbranch_execnz .LBB58_7
.LBB58_8:
	s_endpgm
	.section	.rodata,"a",@progbits
	.p2align	6, 0x0
	.amdhsa_kernel _ZN12_GLOBAL__N_141elementwise_kernel_with_index_grid_strideIiZZZN2at6native14range_cuda_outERKN3c106ScalarES6_S6_RNS1_6TensorEENKUlvE_clEvENKUlvE5_clEvEUllE_EEvT_T0_PN15function_traitsISD_E11result_typeE
		.amdhsa_group_segment_fixed_size 0
		.amdhsa_private_segment_fixed_size 0
		.amdhsa_kernarg_size 280
		.amdhsa_user_sgpr_count 2
		.amdhsa_user_sgpr_dispatch_ptr 0
		.amdhsa_user_sgpr_queue_ptr 0
		.amdhsa_user_sgpr_kernarg_segment_ptr 1
		.amdhsa_user_sgpr_dispatch_id 0
		.amdhsa_user_sgpr_kernarg_preload_length 0
		.amdhsa_user_sgpr_kernarg_preload_offset 0
		.amdhsa_user_sgpr_private_segment_size 0
		.amdhsa_uses_dynamic_stack 0
		.amdhsa_enable_private_segment 0
		.amdhsa_system_sgpr_workgroup_id_x 1
		.amdhsa_system_sgpr_workgroup_id_y 0
		.amdhsa_system_sgpr_workgroup_id_z 0
		.amdhsa_system_sgpr_workgroup_info 0
		.amdhsa_system_vgpr_workitem_id 0
		.amdhsa_next_free_vgpr 16
		.amdhsa_next_free_sgpr 16
		.amdhsa_accum_offset 16
		.amdhsa_reserve_vcc 1
		.amdhsa_float_round_mode_32 0
		.amdhsa_float_round_mode_16_64 0
		.amdhsa_float_denorm_mode_32 3
		.amdhsa_float_denorm_mode_16_64 3
		.amdhsa_dx10_clamp 1
		.amdhsa_ieee_mode 1
		.amdhsa_fp16_overflow 0
		.amdhsa_tg_split 0
		.amdhsa_exception_fp_ieee_invalid_op 0
		.amdhsa_exception_fp_denorm_src 0
		.amdhsa_exception_fp_ieee_div_zero 0
		.amdhsa_exception_fp_ieee_overflow 0
		.amdhsa_exception_fp_ieee_underflow 0
		.amdhsa_exception_fp_ieee_inexact 0
		.amdhsa_exception_int_div_zero 0
	.end_amdhsa_kernel
	.section	.text._ZN12_GLOBAL__N_141elementwise_kernel_with_index_grid_strideIiZZZN2at6native14range_cuda_outERKN3c106ScalarES6_S6_RNS1_6TensorEENKUlvE_clEvENKUlvE5_clEvEUllE_EEvT_T0_PN15function_traitsISD_E11result_typeE,"axG",@progbits,_ZN12_GLOBAL__N_141elementwise_kernel_with_index_grid_strideIiZZZN2at6native14range_cuda_outERKN3c106ScalarES6_S6_RNS1_6TensorEENKUlvE_clEvENKUlvE5_clEvEUllE_EEvT_T0_PN15function_traitsISD_E11result_typeE,comdat
.Lfunc_end58:
	.size	_ZN12_GLOBAL__N_141elementwise_kernel_with_index_grid_strideIiZZZN2at6native14range_cuda_outERKN3c106ScalarES6_S6_RNS1_6TensorEENKUlvE_clEvENKUlvE5_clEvEUllE_EEvT_T0_PN15function_traitsISD_E11result_typeE, .Lfunc_end58-_ZN12_GLOBAL__N_141elementwise_kernel_with_index_grid_strideIiZZZN2at6native14range_cuda_outERKN3c106ScalarES6_S6_RNS1_6TensorEENKUlvE_clEvENKUlvE5_clEvEUllE_EEvT_T0_PN15function_traitsISD_E11result_typeE
                                        ; -- End function
	.set _ZN12_GLOBAL__N_141elementwise_kernel_with_index_grid_strideIiZZZN2at6native14range_cuda_outERKN3c106ScalarES6_S6_RNS1_6TensorEENKUlvE_clEvENKUlvE5_clEvEUllE_EEvT_T0_PN15function_traitsISD_E11result_typeE.num_vgpr, 16
	.set _ZN12_GLOBAL__N_141elementwise_kernel_with_index_grid_strideIiZZZN2at6native14range_cuda_outERKN3c106ScalarES6_S6_RNS1_6TensorEENKUlvE_clEvENKUlvE5_clEvEUllE_EEvT_T0_PN15function_traitsISD_E11result_typeE.num_agpr, 0
	.set _ZN12_GLOBAL__N_141elementwise_kernel_with_index_grid_strideIiZZZN2at6native14range_cuda_outERKN3c106ScalarES6_S6_RNS1_6TensorEENKUlvE_clEvENKUlvE5_clEvEUllE_EEvT_T0_PN15function_traitsISD_E11result_typeE.numbered_sgpr, 16
	.set _ZN12_GLOBAL__N_141elementwise_kernel_with_index_grid_strideIiZZZN2at6native14range_cuda_outERKN3c106ScalarES6_S6_RNS1_6TensorEENKUlvE_clEvENKUlvE5_clEvEUllE_EEvT_T0_PN15function_traitsISD_E11result_typeE.num_named_barrier, 0
	.set _ZN12_GLOBAL__N_141elementwise_kernel_with_index_grid_strideIiZZZN2at6native14range_cuda_outERKN3c106ScalarES6_S6_RNS1_6TensorEENKUlvE_clEvENKUlvE5_clEvEUllE_EEvT_T0_PN15function_traitsISD_E11result_typeE.private_seg_size, 0
	.set _ZN12_GLOBAL__N_141elementwise_kernel_with_index_grid_strideIiZZZN2at6native14range_cuda_outERKN3c106ScalarES6_S6_RNS1_6TensorEENKUlvE_clEvENKUlvE5_clEvEUllE_EEvT_T0_PN15function_traitsISD_E11result_typeE.uses_vcc, 1
	.set _ZN12_GLOBAL__N_141elementwise_kernel_with_index_grid_strideIiZZZN2at6native14range_cuda_outERKN3c106ScalarES6_S6_RNS1_6TensorEENKUlvE_clEvENKUlvE5_clEvEUllE_EEvT_T0_PN15function_traitsISD_E11result_typeE.uses_flat_scratch, 0
	.set _ZN12_GLOBAL__N_141elementwise_kernel_with_index_grid_strideIiZZZN2at6native14range_cuda_outERKN3c106ScalarES6_S6_RNS1_6TensorEENKUlvE_clEvENKUlvE5_clEvEUllE_EEvT_T0_PN15function_traitsISD_E11result_typeE.has_dyn_sized_stack, 0
	.set _ZN12_GLOBAL__N_141elementwise_kernel_with_index_grid_strideIiZZZN2at6native14range_cuda_outERKN3c106ScalarES6_S6_RNS1_6TensorEENKUlvE_clEvENKUlvE5_clEvEUllE_EEvT_T0_PN15function_traitsISD_E11result_typeE.has_recursion, 0
	.set _ZN12_GLOBAL__N_141elementwise_kernel_with_index_grid_strideIiZZZN2at6native14range_cuda_outERKN3c106ScalarES6_S6_RNS1_6TensorEENKUlvE_clEvENKUlvE5_clEvEUllE_EEvT_T0_PN15function_traitsISD_E11result_typeE.has_indirect_call, 0
	.section	.AMDGPU.csdata,"",@progbits
; Kernel info:
; codeLenInByte = 508
; TotalNumSgprs: 22
; NumVgprs: 16
; NumAgprs: 0
; TotalNumVgprs: 16
; ScratchSize: 0
; MemoryBound: 0
; FloatMode: 240
; IeeeMode: 1
; LDSByteSize: 0 bytes/workgroup (compile time only)
; SGPRBlocks: 2
; VGPRBlocks: 1
; NumSGPRsForWavesPerEU: 22
; NumVGPRsForWavesPerEU: 16
; AccumOffset: 16
; Occupancy: 8
; WaveLimiterHint : 0
; COMPUTE_PGM_RSRC2:SCRATCH_EN: 0
; COMPUTE_PGM_RSRC2:USER_SGPR: 2
; COMPUTE_PGM_RSRC2:TRAP_HANDLER: 0
; COMPUTE_PGM_RSRC2:TGID_X_EN: 1
; COMPUTE_PGM_RSRC2:TGID_Y_EN: 0
; COMPUTE_PGM_RSRC2:TGID_Z_EN: 0
; COMPUTE_PGM_RSRC2:TIDIG_COMP_CNT: 0
; COMPUTE_PGM_RSRC3_GFX90A:ACCUM_OFFSET: 3
; COMPUTE_PGM_RSRC3_GFX90A:TG_SPLIT: 0
	.section	.text._ZN12_GLOBAL__N_141elementwise_kernel_with_index_grid_strideIlZZZN2at6native14range_cuda_outERKN3c106ScalarES6_S6_RNS1_6TensorEENKUlvE_clEvENKUlvE5_clEvEUllE_EEvT_T0_PN15function_traitsISD_E11result_typeE,"axG",@progbits,_ZN12_GLOBAL__N_141elementwise_kernel_with_index_grid_strideIlZZZN2at6native14range_cuda_outERKN3c106ScalarES6_S6_RNS1_6TensorEENKUlvE_clEvENKUlvE5_clEvEUllE_EEvT_T0_PN15function_traitsISD_E11result_typeE,comdat
	.globl	_ZN12_GLOBAL__N_141elementwise_kernel_with_index_grid_strideIlZZZN2at6native14range_cuda_outERKN3c106ScalarES6_S6_RNS1_6TensorEENKUlvE_clEvENKUlvE5_clEvEUllE_EEvT_T0_PN15function_traitsISD_E11result_typeE ; -- Begin function _ZN12_GLOBAL__N_141elementwise_kernel_with_index_grid_strideIlZZZN2at6native14range_cuda_outERKN3c106ScalarES6_S6_RNS1_6TensorEENKUlvE_clEvENKUlvE5_clEvEUllE_EEvT_T0_PN15function_traitsISD_E11result_typeE
	.p2align	8
	.type	_ZN12_GLOBAL__N_141elementwise_kernel_with_index_grid_strideIlZZZN2at6native14range_cuda_outERKN3c106ScalarES6_S6_RNS1_6TensorEENKUlvE_clEvENKUlvE5_clEvEUllE_EEvT_T0_PN15function_traitsISD_E11result_typeE,@function
_ZN12_GLOBAL__N_141elementwise_kernel_with_index_grid_strideIlZZZN2at6native14range_cuda_outERKN3c106ScalarES6_S6_RNS1_6TensorEENKUlvE_clEvENKUlvE5_clEvEUllE_EEvT_T0_PN15function_traitsISD_E11result_typeE: ; @_ZN12_GLOBAL__N_141elementwise_kernel_with_index_grid_strideIlZZZN2at6native14range_cuda_outERKN3c106ScalarES6_S6_RNS1_6TensorEENKUlvE_clEvENKUlvE5_clEvEUllE_EEvT_T0_PN15function_traitsISD_E11result_typeE
; %bb.0:
	s_load_dword s3, s[0:1], 0x24
	s_load_dwordx2 s[4:5], s[0:1], 0x0
	s_add_u32 s6, s0, 24
	s_addc_u32 s7, s1, 0
	v_mov_b32_e32 v1, 0
	s_waitcnt lgkmcnt(0)
	s_and_b32 s3, s3, 0xffff
	v_mov_b32_e32 v2, s2
	v_mad_u64_u32 v[2:3], s[8:9], s3, v2, v[0:1]
	v_cmp_gt_i64_e32 vcc, s[4:5], v[2:3]
	s_and_saveexec_b64 s[8:9], vcc
	s_cbranch_execz .LBB59_14
; %bb.1:
	s_load_dword s10, s[6:7], 0x0
	v_mov_b32_e32 v4, s3
	s_mov_b32 s11, 0
	v_mov_b32_e32 v5, s11
	s_load_dwordx2 s[6:7], s[0:1], 0x8
	s_waitcnt lgkmcnt(0)
	s_add_u32 s2, s2, s10
	s_mul_hi_u32 s9, s3, s10
	s_mul_i32 s8, s3, s10
	s_addc_u32 s10, 0, 0
	s_mul_i32 s10, s10, s3
	v_mad_u64_u32 v[6:7], s[2:3], s2, v4, v[0:1]
	v_add_u32_e32 v7, s10, v7
	v_cmp_gt_i64_e32 vcc, s[4:5], v[6:7]
	v_mov_b32_e32 v4, s4
	v_mov_b32_e32 v0, s5
	v_cndmask_b32_e32 v8, v6, v4, vcc
	v_cndmask_b32_e64 v4, 0, 1, vcc
	v_cndmask_b32_e32 v0, v7, v0, vcc
	v_lshl_add_u64 v[6:7], v[6:7], 0, v[4:5]
	v_sub_co_u32_e32 v6, vcc, v8, v6
	v_mov_b32_e32 v8, v1
	s_nop 0
	v_subb_co_u32_e32 v7, vcc, v0, v7, vcc
	v_or_b32_e32 v9, s9, v7
	v_cmp_ne_u64_e32 vcc, 0, v[8:9]
                                        ; implicit-def: $vgpr0_vgpr1
	s_and_saveexec_b64 s[2:3], vcc
	s_xor_b64 s[10:11], exec, s[2:3]
	s_cbranch_execz .LBB59_3
; %bb.2:
	v_cvt_f32_u32_e32 v0, s8
	v_cvt_f32_u32_e32 v1, s9
	s_sub_u32 s12, 0, s8
	s_subb_u32 s13, 0, s9
	v_mov_b32_e32 v9, 0
	v_fmamk_f32 v0, v1, 0x4f800000, v0
	v_rcp_f32_e32 v0, v0
	s_nop 0
	v_mul_f32_e32 v0, 0x5f7ffffc, v0
	v_mul_f32_e32 v1, 0x2f800000, v0
	v_trunc_f32_e32 v1, v1
	v_fmamk_f32 v0, v1, 0xcf800000, v0
	v_cvt_u32_f32_e32 v1, v1
	v_cvt_u32_f32_e32 v0, v0
	v_readfirstlane_b32 s14, v1
	v_readfirstlane_b32 s2, v0
	s_mul_i32 s3, s12, s14
	s_mul_hi_u32 s16, s12, s2
	s_mul_i32 s15, s13, s2
	s_add_i32 s3, s16, s3
	s_mul_i32 s17, s12, s2
	s_add_i32 s3, s3, s15
	s_mul_i32 s16, s2, s3
	s_mul_hi_u32 s18, s2, s17
	s_mul_hi_u32 s15, s2, s3
	s_add_u32 s16, s18, s16
	s_addc_u32 s15, 0, s15
	s_mul_hi_u32 s19, s14, s17
	s_mul_i32 s17, s14, s17
	s_add_u32 s16, s16, s17
	s_mul_hi_u32 s18, s14, s3
	s_addc_u32 s15, s15, s19
	s_addc_u32 s16, s18, 0
	s_mul_i32 s3, s14, s3
	s_add_u32 s3, s15, s3
	s_addc_u32 s15, 0, s16
	s_add_u32 s16, s2, s3
	s_cselect_b64 s[2:3], -1, 0
	s_cmp_lg_u64 s[2:3], 0
	s_addc_u32 s14, s14, s15
	s_mul_i32 s2, s12, s14
	s_mul_hi_u32 s3, s12, s16
	s_add_i32 s2, s3, s2
	s_mul_i32 s13, s13, s16
	s_add_i32 s2, s2, s13
	s_mul_i32 s12, s12, s16
	s_mul_hi_u32 s13, s14, s12
	s_mul_i32 s15, s14, s12
	s_mul_i32 s18, s16, s2
	s_mul_hi_u32 s12, s16, s12
	s_mul_hi_u32 s17, s16, s2
	s_add_u32 s12, s12, s18
	s_addc_u32 s17, 0, s17
	s_add_u32 s12, s12, s15
	s_mul_hi_u32 s3, s14, s2
	s_addc_u32 s12, s17, s13
	s_addc_u32 s3, s3, 0
	s_mul_i32 s2, s14, s2
	s_add_u32 s2, s12, s2
	s_addc_u32 s12, 0, s3
	s_add_u32 s13, s16, s2
	s_cselect_b64 s[2:3], -1, 0
	s_cmp_lg_u64 s[2:3], 0
	s_addc_u32 s12, s14, s12
	v_mad_u64_u32 v[0:1], s[2:3], v6, s12, 0
	v_mul_hi_u32 v8, v6, s13
	v_lshl_add_u64 v[0:1], v[8:9], 0, v[0:1]
	v_mad_u64_u32 v[12:13], s[2:3], v7, s13, 0
	v_add_co_u32_e32 v0, vcc, v0, v12
	v_mad_u64_u32 v[10:11], s[2:3], v7, s12, 0
	s_nop 0
	v_addc_co_u32_e32 v8, vcc, v1, v13, vcc
	s_nop 1
	v_addc_co_u32_e32 v11, vcc, 0, v11, vcc
	v_lshl_add_u64 v[0:1], v[8:9], 0, v[10:11]
	v_mul_lo_u32 v10, s9, v0
	v_mul_lo_u32 v11, s8, v1
	v_mad_u64_u32 v[8:9], s[2:3], s8, v0, 0
	v_add3_u32 v12, v9, v11, v10
	v_sub_u32_e32 v9, v7, v12
	v_mov_b32_e32 v10, s9
	v_sub_co_u32_e32 v6, vcc, v6, v8
	s_nop 1
	v_subb_co_u32_e64 v8, s[2:3], v9, v10, vcc
	v_subrev_co_u32_e64 v9, s[2:3], s8, v6
	v_subb_co_u32_e32 v7, vcc, v7, v12, vcc
	s_nop 0
	v_subbrev_co_u32_e64 v8, s[2:3], 0, v8, s[2:3]
	v_cmp_le_u32_e64 s[2:3], s9, v8
	v_cmp_le_u32_e32 vcc, s9, v7
	s_nop 0
	v_cndmask_b32_e64 v10, 0, -1, s[2:3]
	v_cmp_le_u32_e64 s[2:3], s8, v9
	s_nop 1
	v_cndmask_b32_e64 v9, 0, -1, s[2:3]
	v_cmp_eq_u32_e64 s[2:3], s9, v8
	s_nop 1
	v_cndmask_b32_e64 v13, v10, v9, s[2:3]
	v_lshl_add_u64 v[8:9], v[0:1], 0, 2
	v_lshl_add_u64 v[10:11], v[0:1], 0, 1
	v_cmp_ne_u32_e64 s[2:3], 0, v13
	s_nop 1
	v_cndmask_b32_e64 v9, v11, v9, s[2:3]
	v_cndmask_b32_e64 v11, 0, -1, vcc
	v_cmp_le_u32_e32 vcc, s8, v6
	s_nop 1
	v_cndmask_b32_e64 v6, 0, -1, vcc
	v_cmp_eq_u32_e32 vcc, s9, v7
	s_nop 1
	v_cndmask_b32_e32 v6, v11, v6, vcc
	v_cmp_ne_u32_e32 vcc, 0, v6
	v_cndmask_b32_e64 v6, v10, v8, s[2:3]
	s_nop 0
	v_cndmask_b32_e32 v1, v1, v9, vcc
	v_cndmask_b32_e32 v0, v0, v6, vcc
                                        ; implicit-def: $vgpr6
.LBB59_3:
	s_andn2_saveexec_b64 s[2:3], s[10:11]
	s_cbranch_execz .LBB59_5
; %bb.4:
	v_cvt_f32_u32_e32 v0, s8
	s_sub_i32 s10, 0, s8
	v_rcp_iflag_f32_e32 v0, v0
	s_nop 0
	v_mul_f32_e32 v0, 0x4f7ffffe, v0
	v_cvt_u32_f32_e32 v0, v0
	v_mul_lo_u32 v1, s10, v0
	v_mul_hi_u32 v1, v0, v1
	v_add_u32_e32 v0, v0, v1
	v_mul_hi_u32 v0, v6, v0
	v_mul_lo_u32 v1, v0, s8
	v_sub_u32_e32 v1, v6, v1
	v_add_u32_e32 v7, 1, v0
	v_subrev_u32_e32 v6, s8, v1
	v_cmp_le_u32_e32 vcc, s8, v1
	s_nop 1
	v_cndmask_b32_e32 v1, v1, v6, vcc
	v_cndmask_b32_e32 v0, v0, v7, vcc
	v_add_u32_e32 v6, 1, v0
	v_cmp_le_u32_e32 vcc, s8, v1
	v_mov_b32_e32 v1, 0
	s_nop 0
	v_cndmask_b32_e32 v0, v0, v6, vcc
.LBB59_5:
	s_or_b64 exec, exec, s[2:3]
	s_load_dwordx2 s[0:1], s[0:1], 0x10
	v_lshl_add_u64 v[0:1], v[0:1], 0, v[4:5]
	v_lshl_add_u64 v[0:1], v[0:1], 0, 1
	v_cmp_lt_u64_e32 vcc, 1, v[0:1]
	s_mov_b64 s[10:11], 0
                                        ; implicit-def: $vgpr4_vgpr5
	s_and_saveexec_b64 s[2:3], vcc
	s_xor_b64 s[2:3], exec, s[2:3]
	s_cbranch_execnz .LBB59_8
; %bb.6:
	s_andn2_saveexec_b64 s[2:3], s[2:3]
	s_cbranch_execnz .LBB59_11
.LBB59_7:
	s_or_b64 exec, exec, s[2:3]
	s_and_b64 exec, exec, s[10:11]
	s_cbranch_execnz .LBB59_12
	s_branch .LBB59_14
.LBB59_8:
	v_lshl_add_u64 v[4:5], v[2:3], 0, s[8:9]
	v_and_b32_e32 v8, -2, v0
	v_mov_b32_e32 v9, v1
	s_mov_b32 s22, s6
	s_mov_b32 s23, s6
	s_lshl_b64 s[14:15], s[8:9], 1
	v_mov_b64_e32 v[6:7], v[4:5]
	s_mov_b32 s10, s7
	s_mov_b32 s11, s7
	;; [unrolled: 1-line block ×4, first 2 shown]
	s_lshl_b64 s[12:13], s[8:9], 2
	s_waitcnt lgkmcnt(0)
	v_lshl_add_u64 v[10:11], v[2:3], 2, s[0:1]
	s_lshl_b64 s[20:21], s[8:9], 3
	s_mov_b64 s[18:19], 0
	v_mov_b64_e32 v[12:13], s[22:23]
	v_mov_b64_e32 v[14:15], v[8:9]
	;; [unrolled: 1-line block ×3, first 2 shown]
.LBB59_9:                               ; =>This Inner Loop Header: Depth=1
	v_ffbh_u32_e32 v18, v7
	v_ffbh_u32_e32 v19, v5
	v_min_u32_e32 v20, 32, v18
	v_min_u32_e32 v22, 32, v19
	v_lshlrev_b64 v[18:19], v20, v[6:7]
	v_sub_u32_e32 v23, 32, v20
	v_lshlrev_b64 v[20:21], v22, v[4:5]
	v_min_u32_e32 v18, 1, v18
	v_min_u32_e32 v20, 1, v20
	v_or_b32_e32 v18, v19, v18
	v_or_b32_e32 v19, v21, v20
	v_cvt_f32_u32_e32 v18, v18
	v_cvt_f32_u32_e32 v20, v19
	v_sub_u32_e32 v22, 32, v22
	v_lshl_add_u64 v[14:15], v[14:15], 0, -2
	v_ldexp_f32 v19, v18, v23
	v_ldexp_f32 v18, v20, v22
	v_cmp_eq_u64_e32 vcc, 0, v[14:15]
	v_pk_fma_f32 v[18:19], s[10:11], v[18:19], v[12:13]
	v_lshl_add_u64 v[16:17], v[10:11], 0, s[12:13]
	v_lshl_add_u64 v[6:7], v[6:7], 0, s[16:17]
	;; [unrolled: 1-line block ×3, first 2 shown]
	s_or_b64 s[18:19], vcc, s[18:19]
	global_store_dword v[10:11], v18, off
	global_store_dword v[16:17], v19, off
	v_lshl_add_u64 v[10:11], v[10:11], 0, s[20:21]
	s_andn2_b64 exec, exec, s[18:19]
	s_cbranch_execnz .LBB59_9
; %bb.10:
	s_or_b64 exec, exec, s[18:19]
	v_mad_u64_u32 v[2:3], s[10:11], v8, s8, v[2:3]
	v_mul_lo_u32 v4, v8, s9
	v_mul_lo_u32 v5, v9, s8
	v_cmp_ne_u64_e32 vcc, v[0:1], v[8:9]
	v_add3_u32 v3, v5, v3, v4
	v_mov_b64_e32 v[4:5], s[12:13]
	s_and_b64 s[10:11], vcc, exec
	s_andn2_saveexec_b64 s[2:3], s[2:3]
	s_cbranch_execz .LBB59_7
.LBB59_11:
	s_lshl_b64 s[12:13], s[8:9], 2
	v_mov_b64_e32 v[4:5], s[12:13]
	s_or_b64 s[10:11], s[10:11], exec
	s_or_b64 exec, exec, s[2:3]
	s_and_b64 exec, exec, s[10:11]
	s_cbranch_execz .LBB59_14
.LBB59_12:
	s_waitcnt lgkmcnt(0)
	v_lshl_add_u64 v[0:1], v[2:3], 2, s[0:1]
	s_mov_b64 s[0:1], 0
	v_mov_b32_e32 v6, s6
.LBB59_13:                              ; =>This Inner Loop Header: Depth=1
	v_ffbh_u32_e32 v7, v3
	v_min_u32_e32 v7, 32, v7
	v_lshlrev_b64 v[8:9], v7, v[2:3]
	v_min_u32_e32 v8, 1, v8
	v_or_b32_e32 v8, v9, v8
	v_cvt_f32_u32_e32 v8, v8
	v_sub_u32_e32 v7, 32, v7
	v_lshl_add_u64 v[2:3], v[2:3], 0, s[8:9]
	v_cmp_le_i64_e32 vcc, s[4:5], v[2:3]
	v_ldexp_f32 v7, v8, v7
	v_fma_f32 v7, s7, v7, v6
	s_or_b64 s[0:1], vcc, s[0:1]
	global_store_dword v[0:1], v7, off
	v_lshl_add_u64 v[0:1], v[0:1], 0, v[4:5]
	s_andn2_b64 exec, exec, s[0:1]
	s_cbranch_execnz .LBB59_13
.LBB59_14:
	s_endpgm
	.section	.rodata,"a",@progbits
	.p2align	6, 0x0
	.amdhsa_kernel _ZN12_GLOBAL__N_141elementwise_kernel_with_index_grid_strideIlZZZN2at6native14range_cuda_outERKN3c106ScalarES6_S6_RNS1_6TensorEENKUlvE_clEvENKUlvE5_clEvEUllE_EEvT_T0_PN15function_traitsISD_E11result_typeE
		.amdhsa_group_segment_fixed_size 0
		.amdhsa_private_segment_fixed_size 0
		.amdhsa_kernarg_size 280
		.amdhsa_user_sgpr_count 2
		.amdhsa_user_sgpr_dispatch_ptr 0
		.amdhsa_user_sgpr_queue_ptr 0
		.amdhsa_user_sgpr_kernarg_segment_ptr 1
		.amdhsa_user_sgpr_dispatch_id 0
		.amdhsa_user_sgpr_kernarg_preload_length 0
		.amdhsa_user_sgpr_kernarg_preload_offset 0
		.amdhsa_user_sgpr_private_segment_size 0
		.amdhsa_uses_dynamic_stack 0
		.amdhsa_enable_private_segment 0
		.amdhsa_system_sgpr_workgroup_id_x 1
		.amdhsa_system_sgpr_workgroup_id_y 0
		.amdhsa_system_sgpr_workgroup_id_z 0
		.amdhsa_system_sgpr_workgroup_info 0
		.amdhsa_system_vgpr_workitem_id 0
		.amdhsa_next_free_vgpr 24
		.amdhsa_next_free_sgpr 24
		.amdhsa_accum_offset 24
		.amdhsa_reserve_vcc 1
		.amdhsa_float_round_mode_32 0
		.amdhsa_float_round_mode_16_64 0
		.amdhsa_float_denorm_mode_32 3
		.amdhsa_float_denorm_mode_16_64 3
		.amdhsa_dx10_clamp 1
		.amdhsa_ieee_mode 1
		.amdhsa_fp16_overflow 0
		.amdhsa_tg_split 0
		.amdhsa_exception_fp_ieee_invalid_op 0
		.amdhsa_exception_fp_denorm_src 0
		.amdhsa_exception_fp_ieee_div_zero 0
		.amdhsa_exception_fp_ieee_overflow 0
		.amdhsa_exception_fp_ieee_underflow 0
		.amdhsa_exception_fp_ieee_inexact 0
		.amdhsa_exception_int_div_zero 0
	.end_amdhsa_kernel
	.section	.text._ZN12_GLOBAL__N_141elementwise_kernel_with_index_grid_strideIlZZZN2at6native14range_cuda_outERKN3c106ScalarES6_S6_RNS1_6TensorEENKUlvE_clEvENKUlvE5_clEvEUllE_EEvT_T0_PN15function_traitsISD_E11result_typeE,"axG",@progbits,_ZN12_GLOBAL__N_141elementwise_kernel_with_index_grid_strideIlZZZN2at6native14range_cuda_outERKN3c106ScalarES6_S6_RNS1_6TensorEENKUlvE_clEvENKUlvE5_clEvEUllE_EEvT_T0_PN15function_traitsISD_E11result_typeE,comdat
.Lfunc_end59:
	.size	_ZN12_GLOBAL__N_141elementwise_kernel_with_index_grid_strideIlZZZN2at6native14range_cuda_outERKN3c106ScalarES6_S6_RNS1_6TensorEENKUlvE_clEvENKUlvE5_clEvEUllE_EEvT_T0_PN15function_traitsISD_E11result_typeE, .Lfunc_end59-_ZN12_GLOBAL__N_141elementwise_kernel_with_index_grid_strideIlZZZN2at6native14range_cuda_outERKN3c106ScalarES6_S6_RNS1_6TensorEENKUlvE_clEvENKUlvE5_clEvEUllE_EEvT_T0_PN15function_traitsISD_E11result_typeE
                                        ; -- End function
	.set _ZN12_GLOBAL__N_141elementwise_kernel_with_index_grid_strideIlZZZN2at6native14range_cuda_outERKN3c106ScalarES6_S6_RNS1_6TensorEENKUlvE_clEvENKUlvE5_clEvEUllE_EEvT_T0_PN15function_traitsISD_E11result_typeE.num_vgpr, 24
	.set _ZN12_GLOBAL__N_141elementwise_kernel_with_index_grid_strideIlZZZN2at6native14range_cuda_outERKN3c106ScalarES6_S6_RNS1_6TensorEENKUlvE_clEvENKUlvE5_clEvEUllE_EEvT_T0_PN15function_traitsISD_E11result_typeE.num_agpr, 0
	.set _ZN12_GLOBAL__N_141elementwise_kernel_with_index_grid_strideIlZZZN2at6native14range_cuda_outERKN3c106ScalarES6_S6_RNS1_6TensorEENKUlvE_clEvENKUlvE5_clEvEUllE_EEvT_T0_PN15function_traitsISD_E11result_typeE.numbered_sgpr, 24
	.set _ZN12_GLOBAL__N_141elementwise_kernel_with_index_grid_strideIlZZZN2at6native14range_cuda_outERKN3c106ScalarES6_S6_RNS1_6TensorEENKUlvE_clEvENKUlvE5_clEvEUllE_EEvT_T0_PN15function_traitsISD_E11result_typeE.num_named_barrier, 0
	.set _ZN12_GLOBAL__N_141elementwise_kernel_with_index_grid_strideIlZZZN2at6native14range_cuda_outERKN3c106ScalarES6_S6_RNS1_6TensorEENKUlvE_clEvENKUlvE5_clEvEUllE_EEvT_T0_PN15function_traitsISD_E11result_typeE.private_seg_size, 0
	.set _ZN12_GLOBAL__N_141elementwise_kernel_with_index_grid_strideIlZZZN2at6native14range_cuda_outERKN3c106ScalarES6_S6_RNS1_6TensorEENKUlvE_clEvENKUlvE5_clEvEUllE_EEvT_T0_PN15function_traitsISD_E11result_typeE.uses_vcc, 1
	.set _ZN12_GLOBAL__N_141elementwise_kernel_with_index_grid_strideIlZZZN2at6native14range_cuda_outERKN3c106ScalarES6_S6_RNS1_6TensorEENKUlvE_clEvENKUlvE5_clEvEUllE_EEvT_T0_PN15function_traitsISD_E11result_typeE.uses_flat_scratch, 0
	.set _ZN12_GLOBAL__N_141elementwise_kernel_with_index_grid_strideIlZZZN2at6native14range_cuda_outERKN3c106ScalarES6_S6_RNS1_6TensorEENKUlvE_clEvENKUlvE5_clEvEUllE_EEvT_T0_PN15function_traitsISD_E11result_typeE.has_dyn_sized_stack, 0
	.set _ZN12_GLOBAL__N_141elementwise_kernel_with_index_grid_strideIlZZZN2at6native14range_cuda_outERKN3c106ScalarES6_S6_RNS1_6TensorEENKUlvE_clEvENKUlvE5_clEvEUllE_EEvT_T0_PN15function_traitsISD_E11result_typeE.has_recursion, 0
	.set _ZN12_GLOBAL__N_141elementwise_kernel_with_index_grid_strideIlZZZN2at6native14range_cuda_outERKN3c106ScalarES6_S6_RNS1_6TensorEENKUlvE_clEvENKUlvE5_clEvEUllE_EEvT_T0_PN15function_traitsISD_E11result_typeE.has_indirect_call, 0
	.section	.AMDGPU.csdata,"",@progbits
; Kernel info:
; codeLenInByte = 1408
; TotalNumSgprs: 30
; NumVgprs: 24
; NumAgprs: 0
; TotalNumVgprs: 24
; ScratchSize: 0
; MemoryBound: 0
; FloatMode: 240
; IeeeMode: 1
; LDSByteSize: 0 bytes/workgroup (compile time only)
; SGPRBlocks: 3
; VGPRBlocks: 2
; NumSGPRsForWavesPerEU: 30
; NumVGPRsForWavesPerEU: 24
; AccumOffset: 24
; Occupancy: 8
; WaveLimiterHint : 0
; COMPUTE_PGM_RSRC2:SCRATCH_EN: 0
; COMPUTE_PGM_RSRC2:USER_SGPR: 2
; COMPUTE_PGM_RSRC2:TRAP_HANDLER: 0
; COMPUTE_PGM_RSRC2:TGID_X_EN: 1
; COMPUTE_PGM_RSRC2:TGID_Y_EN: 0
; COMPUTE_PGM_RSRC2:TGID_Z_EN: 0
; COMPUTE_PGM_RSRC2:TIDIG_COMP_CNT: 0
; COMPUTE_PGM_RSRC3_GFX90A:ACCUM_OFFSET: 5
; COMPUTE_PGM_RSRC3_GFX90A:TG_SPLIT: 0
	.section	.text._ZN12_GLOBAL__N_141elementwise_kernel_with_index_grid_strideIiZZZN2at6native14range_cuda_outERKN3c106ScalarES6_S6_RNS1_6TensorEENKUlvE_clEvENKUlvE6_clEvEUllE_EEvT_T0_PN15function_traitsISD_E11result_typeE,"axG",@progbits,_ZN12_GLOBAL__N_141elementwise_kernel_with_index_grid_strideIiZZZN2at6native14range_cuda_outERKN3c106ScalarES6_S6_RNS1_6TensorEENKUlvE_clEvENKUlvE6_clEvEUllE_EEvT_T0_PN15function_traitsISD_E11result_typeE,comdat
	.globl	_ZN12_GLOBAL__N_141elementwise_kernel_with_index_grid_strideIiZZZN2at6native14range_cuda_outERKN3c106ScalarES6_S6_RNS1_6TensorEENKUlvE_clEvENKUlvE6_clEvEUllE_EEvT_T0_PN15function_traitsISD_E11result_typeE ; -- Begin function _ZN12_GLOBAL__N_141elementwise_kernel_with_index_grid_strideIiZZZN2at6native14range_cuda_outERKN3c106ScalarES6_S6_RNS1_6TensorEENKUlvE_clEvENKUlvE6_clEvEUllE_EEvT_T0_PN15function_traitsISD_E11result_typeE
	.p2align	8
	.type	_ZN12_GLOBAL__N_141elementwise_kernel_with_index_grid_strideIiZZZN2at6native14range_cuda_outERKN3c106ScalarES6_S6_RNS1_6TensorEENKUlvE_clEvENKUlvE6_clEvEUllE_EEvT_T0_PN15function_traitsISD_E11result_typeE,@function
_ZN12_GLOBAL__N_141elementwise_kernel_with_index_grid_strideIiZZZN2at6native14range_cuda_outERKN3c106ScalarES6_S6_RNS1_6TensorEENKUlvE_clEvENKUlvE6_clEvEUllE_EEvT_T0_PN15function_traitsISD_E11result_typeE: ; @_ZN12_GLOBAL__N_141elementwise_kernel_with_index_grid_strideIiZZZN2at6native14range_cuda_outERKN3c106ScalarES6_S6_RNS1_6TensorEENKUlvE_clEvENKUlvE6_clEvEUllE_EEvT_T0_PN15function_traitsISD_E11result_typeE
; %bb.0:
	s_load_dword s3, s[0:1], 0x24
	s_load_dwordx4 s[4:7], s[0:1], 0x0
	s_add_u32 s8, s0, 24
	s_addc_u32 s9, s1, 0
	s_waitcnt lgkmcnt(0)
	s_and_b32 s3, s3, 0xffff
	s_mul_i32 s7, s2, s3
	v_add_u32_e32 v2, s7, v0
	v_cmp_gt_i32_e32 vcc, s4, v2
	s_and_saveexec_b64 s[10:11], vcc
	s_cbranch_execz .LBB60_8
; %bb.1:
	s_load_dword s7, s[8:9], 0x0
	s_load_dwordx2 s[10:11], s[0:1], 0x10
	s_waitcnt lgkmcnt(0)
	s_mul_i32 s8, s7, s3
	v_cvt_f32_u32_e32 v1, s8
	s_add_i32 s0, s2, s7
	s_mul_i32 s0, s0, s3
	s_sub_i32 s2, 0, s8
	v_rcp_iflag_f32_e32 v1, v1
	v_add_u32_e32 v3, s0, v0
	v_mov_b32_e32 v4, s0
	v_max_i32_e32 v5, s4, v3
	v_mul_f32_e32 v1, 0x4f7ffffe, v1
	v_cvt_u32_f32_e32 v1, v1
	v_cmp_gt_i32_e32 vcc, s4, v3
	v_mul_lo_u32 v3, s2, v1
	s_nop 0
	v_addc_co_u32_e64 v0, s[0:1], v0, v4, vcc
	v_mul_hi_u32 v3, v1, v3
	v_sub_u32_e32 v0, v5, v0
	v_add_u32_e32 v1, v1, v3
	v_mul_hi_u32 v1, v0, v1
	v_mul_lo_u32 v3, v1, s8
	v_sub_u32_e32 v0, v0, v3
	v_add_u32_e32 v4, 1, v1
	v_cmp_le_u32_e64 s[0:1], s8, v0
	v_subrev_u32_e32 v3, s8, v0
	s_mov_b64 s[2:3], -1
	v_cndmask_b32_e64 v1, v1, v4, s[0:1]
	v_cndmask_b32_e64 v0, v0, v3, s[0:1]
	v_add_u32_e32 v3, 1, v1
	v_cmp_le_u32_e64 s[0:1], s8, v0
	s_nop 1
	v_cndmask_b32_e64 v0, v1, v3, s[0:1]
	v_addc_co_u32_e32 v10, vcc, 1, v0, vcc
	v_cmp_lt_u32_e32 vcc, 3, v10
	s_and_saveexec_b64 s[0:1], vcc
	s_cbranch_execz .LBB60_5
; %bb.2:
	v_add_u32_e32 v3, s8, v2
	v_mad_u64_u32 v[0:1], s[14:15], s8, 3, v[2:3]
	v_lshl_add_u32 v4, s8, 1, v2
	v_mov_b32_e32 v5, v0
	v_and_b32_e32 v11, -4, v10
	s_mov_b32 s18, s5
	s_mov_b32 s19, s5
	s_lshl_b32 s7, s8, 2
	v_mov_b64_e32 v[6:7], v[4:5]
	s_mov_b32 s2, s6
	s_mov_b32 s3, s6
	;; [unrolled: 1-line block ×7, first 2 shown]
	s_mov_b64 s[14:15], 0
	v_mov_b32_e32 v0, s5
	v_mov_b32_e32 v1, s5
	v_mov_b64_e32 v[8:9], s[18:19]
	v_mov_b32_e32 v12, v11
	v_mov_b64_e32 v[4:5], v[2:3]
.LBB60_3:                               ; =>This Inner Loop Header: Depth=1
	v_cvt_f32_i32_e32 v23, v5
	v_cvt_f32_i32_e32 v22, v4
	;; [unrolled: 1-line block ×4, first 2 shown]
	v_add_u32_e32 v12, -4, v12
	v_ashrrev_i32_e32 v21, 31, v4
	v_mov_b32_e32 v20, v4
	v_cmp_eq_u32_e32 vcc, 0, v12
	v_pk_fma_f32 v[22:23], s[2:3], v[22:23], v[8:9]
	v_ashrrev_i32_e32 v15, 31, v7
	v_mov_b32_e32 v14, v7
	v_ashrrev_i32_e32 v17, 31, v6
	v_mov_b32_e32 v16, v6
	;; [unrolled: 2-line block ×3, first 2 shown]
	v_add_u32_e32 v7, s17, v7
	v_add_u32_e32 v6, s16, v6
	v_add_u32_e32 v5, s9, v5
	v_add_u32_e32 v4, s7, v4
	v_lshl_add_u64 v[20:21], v[20:21], 1, s[10:11]
	s_or_b64 s[14:15], vcc, s[14:15]
	v_pk_fma_f32 v[24:25], s[12:13], v[24:25], v[0:1]
	v_cvt_pk_f16_f32 v13, v22, v23
	v_lshl_add_u64 v[18:19], v[18:19], 1, s[10:11]
	v_lshl_add_u64 v[16:17], v[16:17], 1, s[10:11]
	v_lshl_add_u64 v[14:15], v[14:15], 1, s[10:11]
	v_cvt_pk_f16_f32 v3, v24, v25
	global_store_short v[20:21], v13, off
	global_store_short_d16_hi v[18:19], v13, off
	global_store_short v[16:17], v3, off
	global_store_short_d16_hi v[14:15], v3, off
	s_andn2_b64 exec, exec, s[14:15]
	s_cbranch_execnz .LBB60_3
; %bb.4:
	s_or_b64 exec, exec, s[14:15]
	v_mad_u64_u32 v[2:3], s[2:3], v11, s8, v[2:3]
	v_cmp_ne_u32_e32 vcc, v10, v11
	s_orn2_b64 s[2:3], vcc, exec
.LBB60_5:
	s_or_b64 exec, exec, s[0:1]
	s_and_b64 exec, exec, s[2:3]
	s_cbranch_execz .LBB60_8
; %bb.6:
	v_ashrrev_i32_e32 v3, 31, v2
	s_ashr_i32 s9, s8, 31
	v_lshl_add_u64 v[0:1], v[2:3], 1, s[10:11]
	s_lshl_b64 s[0:1], s[8:9], 1
	s_mov_b64 s[2:3], 0
	v_mov_b32_e32 v3, s5
.LBB60_7:                               ; =>This Inner Loop Header: Depth=1
	v_cvt_f32_i32_e32 v4, v2
	v_add_u32_e32 v2, s8, v2
	v_cmp_le_i32_e32 vcc, s4, v2
	s_or_b64 s[2:3], vcc, s[2:3]
	v_fma_mixlo_f16 v4, s6, v4, v3
	global_store_short v[0:1], v4, off
	v_lshl_add_u64 v[0:1], v[0:1], 0, s[0:1]
	s_andn2_b64 exec, exec, s[2:3]
	s_cbranch_execnz .LBB60_7
.LBB60_8:
	s_endpgm
	.section	.rodata,"a",@progbits
	.p2align	6, 0x0
	.amdhsa_kernel _ZN12_GLOBAL__N_141elementwise_kernel_with_index_grid_strideIiZZZN2at6native14range_cuda_outERKN3c106ScalarES6_S6_RNS1_6TensorEENKUlvE_clEvENKUlvE6_clEvEUllE_EEvT_T0_PN15function_traitsISD_E11result_typeE
		.amdhsa_group_segment_fixed_size 0
		.amdhsa_private_segment_fixed_size 0
		.amdhsa_kernarg_size 280
		.amdhsa_user_sgpr_count 2
		.amdhsa_user_sgpr_dispatch_ptr 0
		.amdhsa_user_sgpr_queue_ptr 0
		.amdhsa_user_sgpr_kernarg_segment_ptr 1
		.amdhsa_user_sgpr_dispatch_id 0
		.amdhsa_user_sgpr_kernarg_preload_length 0
		.amdhsa_user_sgpr_kernarg_preload_offset 0
		.amdhsa_user_sgpr_private_segment_size 0
		.amdhsa_uses_dynamic_stack 0
		.amdhsa_enable_private_segment 0
		.amdhsa_system_sgpr_workgroup_id_x 1
		.amdhsa_system_sgpr_workgroup_id_y 0
		.amdhsa_system_sgpr_workgroup_id_z 0
		.amdhsa_system_sgpr_workgroup_info 0
		.amdhsa_system_vgpr_workitem_id 0
		.amdhsa_next_free_vgpr 26
		.amdhsa_next_free_sgpr 20
		.amdhsa_accum_offset 28
		.amdhsa_reserve_vcc 1
		.amdhsa_float_round_mode_32 0
		.amdhsa_float_round_mode_16_64 0
		.amdhsa_float_denorm_mode_32 3
		.amdhsa_float_denorm_mode_16_64 3
		.amdhsa_dx10_clamp 1
		.amdhsa_ieee_mode 1
		.amdhsa_fp16_overflow 0
		.amdhsa_tg_split 0
		.amdhsa_exception_fp_ieee_invalid_op 0
		.amdhsa_exception_fp_denorm_src 0
		.amdhsa_exception_fp_ieee_div_zero 0
		.amdhsa_exception_fp_ieee_overflow 0
		.amdhsa_exception_fp_ieee_underflow 0
		.amdhsa_exception_fp_ieee_inexact 0
		.amdhsa_exception_int_div_zero 0
	.end_amdhsa_kernel
	.section	.text._ZN12_GLOBAL__N_141elementwise_kernel_with_index_grid_strideIiZZZN2at6native14range_cuda_outERKN3c106ScalarES6_S6_RNS1_6TensorEENKUlvE_clEvENKUlvE6_clEvEUllE_EEvT_T0_PN15function_traitsISD_E11result_typeE,"axG",@progbits,_ZN12_GLOBAL__N_141elementwise_kernel_with_index_grid_strideIiZZZN2at6native14range_cuda_outERKN3c106ScalarES6_S6_RNS1_6TensorEENKUlvE_clEvENKUlvE6_clEvEUllE_EEvT_T0_PN15function_traitsISD_E11result_typeE,comdat
.Lfunc_end60:
	.size	_ZN12_GLOBAL__N_141elementwise_kernel_with_index_grid_strideIiZZZN2at6native14range_cuda_outERKN3c106ScalarES6_S6_RNS1_6TensorEENKUlvE_clEvENKUlvE6_clEvEUllE_EEvT_T0_PN15function_traitsISD_E11result_typeE, .Lfunc_end60-_ZN12_GLOBAL__N_141elementwise_kernel_with_index_grid_strideIiZZZN2at6native14range_cuda_outERKN3c106ScalarES6_S6_RNS1_6TensorEENKUlvE_clEvENKUlvE6_clEvEUllE_EEvT_T0_PN15function_traitsISD_E11result_typeE
                                        ; -- End function
	.set _ZN12_GLOBAL__N_141elementwise_kernel_with_index_grid_strideIiZZZN2at6native14range_cuda_outERKN3c106ScalarES6_S6_RNS1_6TensorEENKUlvE_clEvENKUlvE6_clEvEUllE_EEvT_T0_PN15function_traitsISD_E11result_typeE.num_vgpr, 26
	.set _ZN12_GLOBAL__N_141elementwise_kernel_with_index_grid_strideIiZZZN2at6native14range_cuda_outERKN3c106ScalarES6_S6_RNS1_6TensorEENKUlvE_clEvENKUlvE6_clEvEUllE_EEvT_T0_PN15function_traitsISD_E11result_typeE.num_agpr, 0
	.set _ZN12_GLOBAL__N_141elementwise_kernel_with_index_grid_strideIiZZZN2at6native14range_cuda_outERKN3c106ScalarES6_S6_RNS1_6TensorEENKUlvE_clEvENKUlvE6_clEvEUllE_EEvT_T0_PN15function_traitsISD_E11result_typeE.numbered_sgpr, 20
	.set _ZN12_GLOBAL__N_141elementwise_kernel_with_index_grid_strideIiZZZN2at6native14range_cuda_outERKN3c106ScalarES6_S6_RNS1_6TensorEENKUlvE_clEvENKUlvE6_clEvEUllE_EEvT_T0_PN15function_traitsISD_E11result_typeE.num_named_barrier, 0
	.set _ZN12_GLOBAL__N_141elementwise_kernel_with_index_grid_strideIiZZZN2at6native14range_cuda_outERKN3c106ScalarES6_S6_RNS1_6TensorEENKUlvE_clEvENKUlvE6_clEvEUllE_EEvT_T0_PN15function_traitsISD_E11result_typeE.private_seg_size, 0
	.set _ZN12_GLOBAL__N_141elementwise_kernel_with_index_grid_strideIiZZZN2at6native14range_cuda_outERKN3c106ScalarES6_S6_RNS1_6TensorEENKUlvE_clEvENKUlvE6_clEvEUllE_EEvT_T0_PN15function_traitsISD_E11result_typeE.uses_vcc, 1
	.set _ZN12_GLOBAL__N_141elementwise_kernel_with_index_grid_strideIiZZZN2at6native14range_cuda_outERKN3c106ScalarES6_S6_RNS1_6TensorEENKUlvE_clEvENKUlvE6_clEvEUllE_EEvT_T0_PN15function_traitsISD_E11result_typeE.uses_flat_scratch, 0
	.set _ZN12_GLOBAL__N_141elementwise_kernel_with_index_grid_strideIiZZZN2at6native14range_cuda_outERKN3c106ScalarES6_S6_RNS1_6TensorEENKUlvE_clEvENKUlvE6_clEvEUllE_EEvT_T0_PN15function_traitsISD_E11result_typeE.has_dyn_sized_stack, 0
	.set _ZN12_GLOBAL__N_141elementwise_kernel_with_index_grid_strideIiZZZN2at6native14range_cuda_outERKN3c106ScalarES6_S6_RNS1_6TensorEENKUlvE_clEvENKUlvE6_clEvEUllE_EEvT_T0_PN15function_traitsISD_E11result_typeE.has_recursion, 0
	.set _ZN12_GLOBAL__N_141elementwise_kernel_with_index_grid_strideIiZZZN2at6native14range_cuda_outERKN3c106ScalarES6_S6_RNS1_6TensorEENKUlvE_clEvENKUlvE6_clEvEUllE_EEvT_T0_PN15function_traitsISD_E11result_typeE.has_indirect_call, 0
	.section	.AMDGPU.csdata,"",@progbits
; Kernel info:
; codeLenInByte = 648
; TotalNumSgprs: 26
; NumVgprs: 26
; NumAgprs: 0
; TotalNumVgprs: 26
; ScratchSize: 0
; MemoryBound: 0
; FloatMode: 240
; IeeeMode: 1
; LDSByteSize: 0 bytes/workgroup (compile time only)
; SGPRBlocks: 3
; VGPRBlocks: 3
; NumSGPRsForWavesPerEU: 26
; NumVGPRsForWavesPerEU: 26
; AccumOffset: 28
; Occupancy: 8
; WaveLimiterHint : 0
; COMPUTE_PGM_RSRC2:SCRATCH_EN: 0
; COMPUTE_PGM_RSRC2:USER_SGPR: 2
; COMPUTE_PGM_RSRC2:TRAP_HANDLER: 0
; COMPUTE_PGM_RSRC2:TGID_X_EN: 1
; COMPUTE_PGM_RSRC2:TGID_Y_EN: 0
; COMPUTE_PGM_RSRC2:TGID_Z_EN: 0
; COMPUTE_PGM_RSRC2:TIDIG_COMP_CNT: 0
; COMPUTE_PGM_RSRC3_GFX90A:ACCUM_OFFSET: 6
; COMPUTE_PGM_RSRC3_GFX90A:TG_SPLIT: 0
	.section	.text._ZN12_GLOBAL__N_141elementwise_kernel_with_index_grid_strideIlZZZN2at6native14range_cuda_outERKN3c106ScalarES6_S6_RNS1_6TensorEENKUlvE_clEvENKUlvE6_clEvEUllE_EEvT_T0_PN15function_traitsISD_E11result_typeE,"axG",@progbits,_ZN12_GLOBAL__N_141elementwise_kernel_with_index_grid_strideIlZZZN2at6native14range_cuda_outERKN3c106ScalarES6_S6_RNS1_6TensorEENKUlvE_clEvENKUlvE6_clEvEUllE_EEvT_T0_PN15function_traitsISD_E11result_typeE,comdat
	.globl	_ZN12_GLOBAL__N_141elementwise_kernel_with_index_grid_strideIlZZZN2at6native14range_cuda_outERKN3c106ScalarES6_S6_RNS1_6TensorEENKUlvE_clEvENKUlvE6_clEvEUllE_EEvT_T0_PN15function_traitsISD_E11result_typeE ; -- Begin function _ZN12_GLOBAL__N_141elementwise_kernel_with_index_grid_strideIlZZZN2at6native14range_cuda_outERKN3c106ScalarES6_S6_RNS1_6TensorEENKUlvE_clEvENKUlvE6_clEvEUllE_EEvT_T0_PN15function_traitsISD_E11result_typeE
	.p2align	8
	.type	_ZN12_GLOBAL__N_141elementwise_kernel_with_index_grid_strideIlZZZN2at6native14range_cuda_outERKN3c106ScalarES6_S6_RNS1_6TensorEENKUlvE_clEvENKUlvE6_clEvEUllE_EEvT_T0_PN15function_traitsISD_E11result_typeE,@function
_ZN12_GLOBAL__N_141elementwise_kernel_with_index_grid_strideIlZZZN2at6native14range_cuda_outERKN3c106ScalarES6_S6_RNS1_6TensorEENKUlvE_clEvENKUlvE6_clEvEUllE_EEvT_T0_PN15function_traitsISD_E11result_typeE: ; @_ZN12_GLOBAL__N_141elementwise_kernel_with_index_grid_strideIlZZZN2at6native14range_cuda_outERKN3c106ScalarES6_S6_RNS1_6TensorEENKUlvE_clEvENKUlvE6_clEvEUllE_EEvT_T0_PN15function_traitsISD_E11result_typeE
; %bb.0:
	s_load_dword s3, s[0:1], 0x24
	s_load_dwordx2 s[4:5], s[0:1], 0x0
	s_add_u32 s6, s0, 24
	s_addc_u32 s7, s1, 0
	v_mov_b32_e32 v1, 0
	s_waitcnt lgkmcnt(0)
	s_and_b32 s3, s3, 0xffff
	v_mov_b32_e32 v2, s2
	v_mad_u64_u32 v[2:3], s[8:9], s3, v2, v[0:1]
	v_cmp_gt_i64_e32 vcc, s[4:5], v[2:3]
	s_and_saveexec_b64 s[8:9], vcc
	s_cbranch_execz .LBB61_14
; %bb.1:
	s_load_dword s10, s[6:7], 0x0
	v_mov_b32_e32 v4, s3
	s_mov_b32 s11, 0
	v_mov_b32_e32 v5, s11
	s_load_dwordx2 s[6:7], s[0:1], 0x8
	s_waitcnt lgkmcnt(0)
	s_add_u32 s2, s2, s10
	s_mul_hi_u32 s9, s3, s10
	s_mul_i32 s8, s3, s10
	s_addc_u32 s10, 0, 0
	s_mul_i32 s10, s10, s3
	v_mad_u64_u32 v[6:7], s[2:3], s2, v4, v[0:1]
	v_add_u32_e32 v7, s10, v7
	v_cmp_gt_i64_e32 vcc, s[4:5], v[6:7]
	v_mov_b32_e32 v4, s4
	v_mov_b32_e32 v0, s5
	v_cndmask_b32_e32 v8, v6, v4, vcc
	v_cndmask_b32_e64 v4, 0, 1, vcc
	v_cndmask_b32_e32 v0, v7, v0, vcc
	v_lshl_add_u64 v[6:7], v[6:7], 0, v[4:5]
	v_sub_co_u32_e32 v6, vcc, v8, v6
	v_mov_b32_e32 v8, v1
	s_nop 0
	v_subb_co_u32_e32 v7, vcc, v0, v7, vcc
	v_or_b32_e32 v9, s9, v7
	v_cmp_ne_u64_e32 vcc, 0, v[8:9]
                                        ; implicit-def: $vgpr0_vgpr1
	s_and_saveexec_b64 s[2:3], vcc
	s_xor_b64 s[10:11], exec, s[2:3]
	s_cbranch_execz .LBB61_3
; %bb.2:
	v_cvt_f32_u32_e32 v0, s8
	v_cvt_f32_u32_e32 v1, s9
	s_sub_u32 s12, 0, s8
	s_subb_u32 s13, 0, s9
	v_mov_b32_e32 v9, 0
	v_fmamk_f32 v0, v1, 0x4f800000, v0
	v_rcp_f32_e32 v0, v0
	s_nop 0
	v_mul_f32_e32 v0, 0x5f7ffffc, v0
	v_mul_f32_e32 v1, 0x2f800000, v0
	v_trunc_f32_e32 v1, v1
	v_fmamk_f32 v0, v1, 0xcf800000, v0
	v_cvt_u32_f32_e32 v1, v1
	v_cvt_u32_f32_e32 v0, v0
	v_readfirstlane_b32 s14, v1
	v_readfirstlane_b32 s2, v0
	s_mul_i32 s3, s12, s14
	s_mul_hi_u32 s16, s12, s2
	s_mul_i32 s15, s13, s2
	s_add_i32 s3, s16, s3
	s_mul_i32 s17, s12, s2
	s_add_i32 s3, s3, s15
	s_mul_i32 s16, s2, s3
	s_mul_hi_u32 s18, s2, s17
	s_mul_hi_u32 s15, s2, s3
	s_add_u32 s16, s18, s16
	s_addc_u32 s15, 0, s15
	s_mul_hi_u32 s19, s14, s17
	s_mul_i32 s17, s14, s17
	s_add_u32 s16, s16, s17
	s_mul_hi_u32 s18, s14, s3
	s_addc_u32 s15, s15, s19
	s_addc_u32 s16, s18, 0
	s_mul_i32 s3, s14, s3
	s_add_u32 s3, s15, s3
	s_addc_u32 s15, 0, s16
	s_add_u32 s16, s2, s3
	s_cselect_b64 s[2:3], -1, 0
	s_cmp_lg_u64 s[2:3], 0
	s_addc_u32 s14, s14, s15
	s_mul_i32 s2, s12, s14
	s_mul_hi_u32 s3, s12, s16
	s_add_i32 s2, s3, s2
	s_mul_i32 s13, s13, s16
	s_add_i32 s2, s2, s13
	s_mul_i32 s12, s12, s16
	s_mul_hi_u32 s13, s14, s12
	s_mul_i32 s15, s14, s12
	s_mul_i32 s18, s16, s2
	s_mul_hi_u32 s12, s16, s12
	s_mul_hi_u32 s17, s16, s2
	s_add_u32 s12, s12, s18
	s_addc_u32 s17, 0, s17
	s_add_u32 s12, s12, s15
	s_mul_hi_u32 s3, s14, s2
	s_addc_u32 s12, s17, s13
	s_addc_u32 s3, s3, 0
	s_mul_i32 s2, s14, s2
	s_add_u32 s2, s12, s2
	s_addc_u32 s12, 0, s3
	s_add_u32 s13, s16, s2
	s_cselect_b64 s[2:3], -1, 0
	s_cmp_lg_u64 s[2:3], 0
	s_addc_u32 s12, s14, s12
	v_mad_u64_u32 v[0:1], s[2:3], v6, s12, 0
	v_mul_hi_u32 v8, v6, s13
	v_lshl_add_u64 v[0:1], v[8:9], 0, v[0:1]
	v_mad_u64_u32 v[12:13], s[2:3], v7, s13, 0
	v_add_co_u32_e32 v0, vcc, v0, v12
	v_mad_u64_u32 v[10:11], s[2:3], v7, s12, 0
	s_nop 0
	v_addc_co_u32_e32 v8, vcc, v1, v13, vcc
	s_nop 1
	v_addc_co_u32_e32 v11, vcc, 0, v11, vcc
	v_lshl_add_u64 v[0:1], v[8:9], 0, v[10:11]
	v_mul_lo_u32 v10, s9, v0
	v_mul_lo_u32 v11, s8, v1
	v_mad_u64_u32 v[8:9], s[2:3], s8, v0, 0
	v_add3_u32 v12, v9, v11, v10
	v_sub_u32_e32 v9, v7, v12
	v_mov_b32_e32 v10, s9
	v_sub_co_u32_e32 v6, vcc, v6, v8
	s_nop 1
	v_subb_co_u32_e64 v8, s[2:3], v9, v10, vcc
	v_subrev_co_u32_e64 v9, s[2:3], s8, v6
	v_subb_co_u32_e32 v7, vcc, v7, v12, vcc
	s_nop 0
	v_subbrev_co_u32_e64 v8, s[2:3], 0, v8, s[2:3]
	v_cmp_le_u32_e64 s[2:3], s9, v8
	v_cmp_le_u32_e32 vcc, s9, v7
	s_nop 0
	v_cndmask_b32_e64 v10, 0, -1, s[2:3]
	v_cmp_le_u32_e64 s[2:3], s8, v9
	s_nop 1
	v_cndmask_b32_e64 v9, 0, -1, s[2:3]
	v_cmp_eq_u32_e64 s[2:3], s9, v8
	s_nop 1
	v_cndmask_b32_e64 v13, v10, v9, s[2:3]
	v_lshl_add_u64 v[8:9], v[0:1], 0, 2
	v_lshl_add_u64 v[10:11], v[0:1], 0, 1
	v_cmp_ne_u32_e64 s[2:3], 0, v13
	s_nop 1
	v_cndmask_b32_e64 v9, v11, v9, s[2:3]
	v_cndmask_b32_e64 v11, 0, -1, vcc
	v_cmp_le_u32_e32 vcc, s8, v6
	s_nop 1
	v_cndmask_b32_e64 v6, 0, -1, vcc
	v_cmp_eq_u32_e32 vcc, s9, v7
	s_nop 1
	v_cndmask_b32_e32 v6, v11, v6, vcc
	v_cmp_ne_u32_e32 vcc, 0, v6
	v_cndmask_b32_e64 v6, v10, v8, s[2:3]
	s_nop 0
	v_cndmask_b32_e32 v1, v1, v9, vcc
	v_cndmask_b32_e32 v0, v0, v6, vcc
                                        ; implicit-def: $vgpr6
.LBB61_3:
	s_andn2_saveexec_b64 s[2:3], s[10:11]
	s_cbranch_execz .LBB61_5
; %bb.4:
	v_cvt_f32_u32_e32 v0, s8
	s_sub_i32 s10, 0, s8
	v_rcp_iflag_f32_e32 v0, v0
	s_nop 0
	v_mul_f32_e32 v0, 0x4f7ffffe, v0
	v_cvt_u32_f32_e32 v0, v0
	v_mul_lo_u32 v1, s10, v0
	v_mul_hi_u32 v1, v0, v1
	v_add_u32_e32 v0, v0, v1
	v_mul_hi_u32 v0, v6, v0
	v_mul_lo_u32 v1, v0, s8
	v_sub_u32_e32 v1, v6, v1
	v_add_u32_e32 v7, 1, v0
	v_subrev_u32_e32 v6, s8, v1
	v_cmp_le_u32_e32 vcc, s8, v1
	s_nop 1
	v_cndmask_b32_e32 v1, v1, v6, vcc
	v_cndmask_b32_e32 v0, v0, v7, vcc
	v_add_u32_e32 v6, 1, v0
	v_cmp_le_u32_e32 vcc, s8, v1
	v_mov_b32_e32 v1, 0
	s_nop 0
	v_cndmask_b32_e32 v0, v0, v6, vcc
.LBB61_5:
	s_or_b64 exec, exec, s[2:3]
	s_load_dwordx2 s[0:1], s[0:1], 0x10
	v_lshl_add_u64 v[0:1], v[0:1], 0, v[4:5]
	v_lshl_add_u64 v[0:1], v[0:1], 0, 1
	v_cmp_lt_u64_e32 vcc, 3, v[0:1]
	s_mov_b64 s[10:11], 0
                                        ; implicit-def: $vgpr4_vgpr5
	s_and_saveexec_b64 s[2:3], vcc
	s_xor_b64 s[2:3], exec, s[2:3]
	s_cbranch_execnz .LBB61_8
; %bb.6:
	s_andn2_saveexec_b64 s[2:3], s[2:3]
	s_cbranch_execnz .LBB61_11
.LBB61_7:
	s_or_b64 exec, exec, s[2:3]
	s_and_b64 exec, exec, s[10:11]
	s_cbranch_execnz .LBB61_12
	s_branch .LBB61_14
.LBB61_8:
	v_mad_u64_u32 v[8:9], s[14:15], s8, 3, v[2:3]
	v_mov_b32_e32 v10, v9
	v_mad_u64_u32 v[6:7], s[14:15], s8, 2, v[2:3]
	v_mad_u64_u32 v[4:5], s[14:15], s8, 1, v[2:3]
	;; [unrolled: 1-line block ×3, first 2 shown]
	v_lshl_add_u32 v7, s9, 1, v7
	v_add_u32_e32 v5, s9, v5
	v_mov_b32_e32 v9, v10
	v_and_b32_e32 v12, -4, v0
	v_mov_b32_e32 v13, v1
	s_mov_b32 s30, s6
	s_mov_b32 s31, s6
	s_lshl_b64 s[16:17], s[8:9], 2
	s_mul_i32 s24, s9, 6
	s_mul_hi_u32 s25, s8, 6
	v_mov_b64_e32 v[10:11], v[8:9]
	s_mov_b32 s10, s7
	s_mov_b32 s11, s7
	;; [unrolled: 1-line block ×10, first 2 shown]
	s_lshl_b64 s[14:15], s[8:9], 1
	s_add_i32 s25, s25, s24
	s_mul_i32 s24, s8, 6
	s_waitcnt lgkmcnt(0)
	v_lshl_add_u64 v[14:15], v[2:3], 1, s[0:1]
	s_lshl_b64 s[28:29], s[8:9], 3
	s_mov_b64 s[26:27], 0
	v_mov_b64_e32 v[16:17], s[30:31]
	v_mov_b32_e32 v18, s6
	v_mov_b32_e32 v19, s6
	v_mov_b64_e32 v[20:21], v[12:13]
	v_mov_b64_e32 v[8:9], v[6:7]
	;; [unrolled: 1-line block ×4, first 2 shown]
.LBB61_9:                               ; =>This Inner Loop Header: Depth=1
	v_ffbh_u32_e32 v28, v11
	v_ffbh_u32_e32 v29, v9
	;; [unrolled: 1-line block ×4, first 2 shown]
	v_min_u32_e32 v32, 32, v28
	v_min_u32_e32 v33, 32, v29
	;; [unrolled: 1-line block ×4, first 2 shown]
	v_lshlrev_b64 v[28:29], v32, v[10:11]
	v_sub_u32_e32 v37, 32, v32
	v_lshlrev_b64 v[30:31], v33, v[8:9]
	v_sub_u32_e32 v38, 32, v33
	;; [unrolled: 2-line block ×3, first 2 shown]
	v_lshlrev_b64 v[34:35], v36, v[4:5]
	v_min_u32_e32 v28, 1, v28
	v_min_u32_e32 v30, 1, v30
	;; [unrolled: 1-line block ×4, first 2 shown]
	v_or_b32_e32 v28, v29, v28
	v_or_b32_e32 v29, v31, v30
	;; [unrolled: 1-line block ×4, first 2 shown]
	v_cvt_f32_u32_e32 v28, v28
	v_cvt_f32_u32_e32 v32, v29
	;; [unrolled: 1-line block ×4, first 2 shown]
	v_sub_u32_e32 v36, 32, v36
	v_ldexp_f32 v29, v28, v37
	v_ldexp_f32 v28, v32, v38
	;; [unrolled: 1-line block ×4, first 2 shown]
	v_lshl_add_u64 v[20:21], v[20:21], 0, -4
	v_pk_fma_f32 v[30:31], s[10:11], v[30:31], v[16:17]
	v_pk_fma_f32 v[28:29], s[12:13], v[28:29], v[18:19]
	v_cmp_eq_u64_e32 vcc, 0, v[20:21]
	v_cvt_pk_f16_f32 v28, v28, v29
	v_cvt_pk_f16_f32 v29, v30, v31
	v_lshl_add_u64 v[22:23], v[14:15], 0, s[14:15]
	v_lshl_add_u64 v[24:25], v[14:15], 0, s[16:17]
	;; [unrolled: 1-line block ×7, first 2 shown]
	s_or_b64 s[26:27], vcc, s[26:27]
	global_store_short v[14:15], v29, off
	global_store_short_d16_hi v[22:23], v29, off
	global_store_short v[24:25], v28, off
	global_store_short_d16_hi v[26:27], v28, off
	v_lshl_add_u64 v[14:15], v[14:15], 0, s[28:29]
	s_andn2_b64 exec, exec, s[26:27]
	s_cbranch_execnz .LBB61_9
; %bb.10:
	s_or_b64 exec, exec, s[26:27]
	v_mad_u64_u32 v[2:3], s[10:11], v12, s8, v[2:3]
	v_mul_lo_u32 v4, v12, s9
	v_mul_lo_u32 v5, v13, s8
	v_cmp_ne_u64_e32 vcc, v[0:1], v[12:13]
	v_add3_u32 v3, v5, v3, v4
	v_mov_b64_e32 v[4:5], s[14:15]
	s_and_b64 s[10:11], vcc, exec
	s_andn2_saveexec_b64 s[2:3], s[2:3]
	s_cbranch_execz .LBB61_7
.LBB61_11:
	s_lshl_b64 s[12:13], s[8:9], 1
	v_mov_b64_e32 v[4:5], s[12:13]
	s_or_b64 s[10:11], s[10:11], exec
	s_or_b64 exec, exec, s[2:3]
	s_and_b64 exec, exec, s[10:11]
	s_cbranch_execz .LBB61_14
.LBB61_12:
	s_waitcnt lgkmcnt(0)
	v_lshl_add_u64 v[0:1], v[2:3], 1, s[0:1]
	s_mov_b64 s[0:1], 0
	v_mov_b32_e32 v6, s6
.LBB61_13:                              ; =>This Inner Loop Header: Depth=1
	v_ffbh_u32_e32 v7, v3
	v_min_u32_e32 v7, 32, v7
	v_lshlrev_b64 v[8:9], v7, v[2:3]
	v_min_u32_e32 v8, 1, v8
	v_or_b32_e32 v8, v9, v8
	v_cvt_f32_u32_e32 v8, v8
	v_sub_u32_e32 v7, 32, v7
	v_lshl_add_u64 v[2:3], v[2:3], 0, s[8:9]
	v_cmp_le_i64_e32 vcc, s[4:5], v[2:3]
	v_ldexp_f32 v7, v8, v7
	v_fma_mixlo_f16 v7, s7, v7, v6
	s_or_b64 s[0:1], vcc, s[0:1]
	global_store_short v[0:1], v7, off
	v_lshl_add_u64 v[0:1], v[0:1], 0, v[4:5]
	s_andn2_b64 exec, exec, s[0:1]
	s_cbranch_execnz .LBB61_13
.LBB61_14:
	s_endpgm
	.section	.rodata,"a",@progbits
	.p2align	6, 0x0
	.amdhsa_kernel _ZN12_GLOBAL__N_141elementwise_kernel_with_index_grid_strideIlZZZN2at6native14range_cuda_outERKN3c106ScalarES6_S6_RNS1_6TensorEENKUlvE_clEvENKUlvE6_clEvEUllE_EEvT_T0_PN15function_traitsISD_E11result_typeE
		.amdhsa_group_segment_fixed_size 0
		.amdhsa_private_segment_fixed_size 0
		.amdhsa_kernarg_size 280
		.amdhsa_user_sgpr_count 2
		.amdhsa_user_sgpr_dispatch_ptr 0
		.amdhsa_user_sgpr_queue_ptr 0
		.amdhsa_user_sgpr_kernarg_segment_ptr 1
		.amdhsa_user_sgpr_dispatch_id 0
		.amdhsa_user_sgpr_kernarg_preload_length 0
		.amdhsa_user_sgpr_kernarg_preload_offset 0
		.amdhsa_user_sgpr_private_segment_size 0
		.amdhsa_uses_dynamic_stack 0
		.amdhsa_enable_private_segment 0
		.amdhsa_system_sgpr_workgroup_id_x 1
		.amdhsa_system_sgpr_workgroup_id_y 0
		.amdhsa_system_sgpr_workgroup_id_z 0
		.amdhsa_system_sgpr_workgroup_info 0
		.amdhsa_system_vgpr_workitem_id 0
		.amdhsa_next_free_vgpr 40
		.amdhsa_next_free_sgpr 32
		.amdhsa_accum_offset 40
		.amdhsa_reserve_vcc 1
		.amdhsa_float_round_mode_32 0
		.amdhsa_float_round_mode_16_64 0
		.amdhsa_float_denorm_mode_32 3
		.amdhsa_float_denorm_mode_16_64 3
		.amdhsa_dx10_clamp 1
		.amdhsa_ieee_mode 1
		.amdhsa_fp16_overflow 0
		.amdhsa_tg_split 0
		.amdhsa_exception_fp_ieee_invalid_op 0
		.amdhsa_exception_fp_denorm_src 0
		.amdhsa_exception_fp_ieee_div_zero 0
		.amdhsa_exception_fp_ieee_overflow 0
		.amdhsa_exception_fp_ieee_underflow 0
		.amdhsa_exception_fp_ieee_inexact 0
		.amdhsa_exception_int_div_zero 0
	.end_amdhsa_kernel
	.section	.text._ZN12_GLOBAL__N_141elementwise_kernel_with_index_grid_strideIlZZZN2at6native14range_cuda_outERKN3c106ScalarES6_S6_RNS1_6TensorEENKUlvE_clEvENKUlvE6_clEvEUllE_EEvT_T0_PN15function_traitsISD_E11result_typeE,"axG",@progbits,_ZN12_GLOBAL__N_141elementwise_kernel_with_index_grid_strideIlZZZN2at6native14range_cuda_outERKN3c106ScalarES6_S6_RNS1_6TensorEENKUlvE_clEvENKUlvE6_clEvEUllE_EEvT_T0_PN15function_traitsISD_E11result_typeE,comdat
.Lfunc_end61:
	.size	_ZN12_GLOBAL__N_141elementwise_kernel_with_index_grid_strideIlZZZN2at6native14range_cuda_outERKN3c106ScalarES6_S6_RNS1_6TensorEENKUlvE_clEvENKUlvE6_clEvEUllE_EEvT_T0_PN15function_traitsISD_E11result_typeE, .Lfunc_end61-_ZN12_GLOBAL__N_141elementwise_kernel_with_index_grid_strideIlZZZN2at6native14range_cuda_outERKN3c106ScalarES6_S6_RNS1_6TensorEENKUlvE_clEvENKUlvE6_clEvEUllE_EEvT_T0_PN15function_traitsISD_E11result_typeE
                                        ; -- End function
	.set _ZN12_GLOBAL__N_141elementwise_kernel_with_index_grid_strideIlZZZN2at6native14range_cuda_outERKN3c106ScalarES6_S6_RNS1_6TensorEENKUlvE_clEvENKUlvE6_clEvEUllE_EEvT_T0_PN15function_traitsISD_E11result_typeE.num_vgpr, 40
	.set _ZN12_GLOBAL__N_141elementwise_kernel_with_index_grid_strideIlZZZN2at6native14range_cuda_outERKN3c106ScalarES6_S6_RNS1_6TensorEENKUlvE_clEvENKUlvE6_clEvEUllE_EEvT_T0_PN15function_traitsISD_E11result_typeE.num_agpr, 0
	.set _ZN12_GLOBAL__N_141elementwise_kernel_with_index_grid_strideIlZZZN2at6native14range_cuda_outERKN3c106ScalarES6_S6_RNS1_6TensorEENKUlvE_clEvENKUlvE6_clEvEUllE_EEvT_T0_PN15function_traitsISD_E11result_typeE.numbered_sgpr, 32
	.set _ZN12_GLOBAL__N_141elementwise_kernel_with_index_grid_strideIlZZZN2at6native14range_cuda_outERKN3c106ScalarES6_S6_RNS1_6TensorEENKUlvE_clEvENKUlvE6_clEvEUllE_EEvT_T0_PN15function_traitsISD_E11result_typeE.num_named_barrier, 0
	.set _ZN12_GLOBAL__N_141elementwise_kernel_with_index_grid_strideIlZZZN2at6native14range_cuda_outERKN3c106ScalarES6_S6_RNS1_6TensorEENKUlvE_clEvENKUlvE6_clEvEUllE_EEvT_T0_PN15function_traitsISD_E11result_typeE.private_seg_size, 0
	.set _ZN12_GLOBAL__N_141elementwise_kernel_with_index_grid_strideIlZZZN2at6native14range_cuda_outERKN3c106ScalarES6_S6_RNS1_6TensorEENKUlvE_clEvENKUlvE6_clEvEUllE_EEvT_T0_PN15function_traitsISD_E11result_typeE.uses_vcc, 1
	.set _ZN12_GLOBAL__N_141elementwise_kernel_with_index_grid_strideIlZZZN2at6native14range_cuda_outERKN3c106ScalarES6_S6_RNS1_6TensorEENKUlvE_clEvENKUlvE6_clEvEUllE_EEvT_T0_PN15function_traitsISD_E11result_typeE.uses_flat_scratch, 0
	.set _ZN12_GLOBAL__N_141elementwise_kernel_with_index_grid_strideIlZZZN2at6native14range_cuda_outERKN3c106ScalarES6_S6_RNS1_6TensorEENKUlvE_clEvENKUlvE6_clEvEUllE_EEvT_T0_PN15function_traitsISD_E11result_typeE.has_dyn_sized_stack, 0
	.set _ZN12_GLOBAL__N_141elementwise_kernel_with_index_grid_strideIlZZZN2at6native14range_cuda_outERKN3c106ScalarES6_S6_RNS1_6TensorEENKUlvE_clEvENKUlvE6_clEvEUllE_EEvT_T0_PN15function_traitsISD_E11result_typeE.has_recursion, 0
	.set _ZN12_GLOBAL__N_141elementwise_kernel_with_index_grid_strideIlZZZN2at6native14range_cuda_outERKN3c106ScalarES6_S6_RNS1_6TensorEENKUlvE_clEvENKUlvE6_clEvEUllE_EEvT_T0_PN15function_traitsISD_E11result_typeE.has_indirect_call, 0
	.section	.AMDGPU.csdata,"",@progbits
; Kernel info:
; codeLenInByte = 1660
; TotalNumSgprs: 38
; NumVgprs: 40
; NumAgprs: 0
; TotalNumVgprs: 40
; ScratchSize: 0
; MemoryBound: 0
; FloatMode: 240
; IeeeMode: 1
; LDSByteSize: 0 bytes/workgroup (compile time only)
; SGPRBlocks: 4
; VGPRBlocks: 4
; NumSGPRsForWavesPerEU: 38
; NumVGPRsForWavesPerEU: 40
; AccumOffset: 40
; Occupancy: 8
; WaveLimiterHint : 0
; COMPUTE_PGM_RSRC2:SCRATCH_EN: 0
; COMPUTE_PGM_RSRC2:USER_SGPR: 2
; COMPUTE_PGM_RSRC2:TRAP_HANDLER: 0
; COMPUTE_PGM_RSRC2:TGID_X_EN: 1
; COMPUTE_PGM_RSRC2:TGID_Y_EN: 0
; COMPUTE_PGM_RSRC2:TGID_Z_EN: 0
; COMPUTE_PGM_RSRC2:TIDIG_COMP_CNT: 0
; COMPUTE_PGM_RSRC3_GFX90A:ACCUM_OFFSET: 9
; COMPUTE_PGM_RSRC3_GFX90A:TG_SPLIT: 0
	.section	.text._ZN12_GLOBAL__N_141elementwise_kernel_with_index_grid_strideIiZZZN2at6native15arange_cuda_outERKN3c106ScalarES6_S6_RNS1_6TensorEENKUlvE_clEvENKUlvE_clEvEUllE_EEvT_T0_PN15function_traitsISD_E11result_typeE,"axG",@progbits,_ZN12_GLOBAL__N_141elementwise_kernel_with_index_grid_strideIiZZZN2at6native15arange_cuda_outERKN3c106ScalarES6_S6_RNS1_6TensorEENKUlvE_clEvENKUlvE_clEvEUllE_EEvT_T0_PN15function_traitsISD_E11result_typeE,comdat
	.globl	_ZN12_GLOBAL__N_141elementwise_kernel_with_index_grid_strideIiZZZN2at6native15arange_cuda_outERKN3c106ScalarES6_S6_RNS1_6TensorEENKUlvE_clEvENKUlvE_clEvEUllE_EEvT_T0_PN15function_traitsISD_E11result_typeE ; -- Begin function _ZN12_GLOBAL__N_141elementwise_kernel_with_index_grid_strideIiZZZN2at6native15arange_cuda_outERKN3c106ScalarES6_S6_RNS1_6TensorEENKUlvE_clEvENKUlvE_clEvEUllE_EEvT_T0_PN15function_traitsISD_E11result_typeE
	.p2align	8
	.type	_ZN12_GLOBAL__N_141elementwise_kernel_with_index_grid_strideIiZZZN2at6native15arange_cuda_outERKN3c106ScalarES6_S6_RNS1_6TensorEENKUlvE_clEvENKUlvE_clEvEUllE_EEvT_T0_PN15function_traitsISD_E11result_typeE,@function
_ZN12_GLOBAL__N_141elementwise_kernel_with_index_grid_strideIiZZZN2at6native15arange_cuda_outERKN3c106ScalarES6_S6_RNS1_6TensorEENKUlvE_clEvENKUlvE_clEvEUllE_EEvT_T0_PN15function_traitsISD_E11result_typeE: ; @_ZN12_GLOBAL__N_141elementwise_kernel_with_index_grid_strideIiZZZN2at6native15arange_cuda_outERKN3c106ScalarES6_S6_RNS1_6TensorEENKUlvE_clEvENKUlvE_clEvEUllE_EEvT_T0_PN15function_traitsISD_E11result_typeE
; %bb.0:
	s_load_dword s3, s[0:1], 0x2c
	s_load_dword s12, s[0:1], 0x0
	s_add_u32 s10, s0, 32
	s_addc_u32 s11, s1, 0
	s_waitcnt lgkmcnt(0)
	s_and_b32 s3, s3, 0xffff
	s_mul_i32 s4, s2, s3
	v_add_u32_e32 v2, s4, v0
	v_cmp_gt_i32_e32 vcc, s12, v2
	s_and_saveexec_b64 s[4:5], vcc
	s_cbranch_execz .LBB62_8
; %bb.1:
	s_load_dword s13, s[10:11], 0x0
	s_load_dwordx4 s[4:7], s[0:1], 0x8
	s_load_dwordx2 s[8:9], s[0:1], 0x18
	s_waitcnt lgkmcnt(0)
	s_mul_i32 s10, s13, s3
	v_cvt_f32_u32_e32 v1, s10
	s_add_i32 s0, s2, s13
	s_mul_i32 s0, s0, s3
	s_sub_i32 s2, 0, s10
	v_rcp_iflag_f32_e32 v1, v1
	v_add_u32_e32 v3, s0, v0
	v_mov_b32_e32 v4, s0
	v_max_i32_e32 v5, s12, v3
	v_mul_f32_e32 v1, 0x4f7ffffe, v1
	v_cvt_u32_f32_e32 v1, v1
	v_cmp_gt_i32_e32 vcc, s12, v3
	v_mul_lo_u32 v3, s2, v1
	s_nop 0
	v_addc_co_u32_e64 v0, s[0:1], v0, v4, vcc
	v_mul_hi_u32 v3, v1, v3
	v_sub_u32_e32 v0, v5, v0
	v_add_u32_e32 v1, v1, v3
	v_mul_hi_u32 v1, v0, v1
	v_mul_lo_u32 v3, v1, s10
	v_sub_u32_e32 v0, v0, v3
	v_add_u32_e32 v4, 1, v1
	v_cmp_le_u32_e64 s[0:1], s10, v0
	v_subrev_u32_e32 v3, s10, v0
	s_mov_b64 s[2:3], -1
	v_cndmask_b32_e64 v1, v1, v4, s[0:1]
	v_cndmask_b32_e64 v0, v0, v3, s[0:1]
	v_add_u32_e32 v3, 1, v1
	v_cmp_le_u32_e64 s[0:1], s10, v0
	s_nop 1
	v_cndmask_b32_e64 v0, v1, v3, s[0:1]
	v_addc_co_u32_e32 v14, vcc, 1, v0, vcc
	v_cmp_lt_u32_e32 vcc, 3, v14
	s_and_saveexec_b64 s[0:1], vcc
	s_cbranch_execz .LBB62_5
; %bb.2:
	v_add_u32_e32 v3, s10, v2
	v_mad_u64_u32 v[0:1], s[2:3], s10, 3, v[2:3]
	v_lshl_add_u32 v4, s10, 1, v2
	v_mov_b32_e32 v5, v0
	v_and_b32_e32 v15, -4, v14
	s_lshl_b32 s16, s10, 2
	v_mov_b64_e32 v[6:7], v[4:5]
	s_mov_b32 s11, s6
	s_mov_b32 s13, s6
	;; [unrolled: 1-line block ×7, first 2 shown]
	s_mov_b64 s[2:3], 0
	v_mov_b32_e32 v0, s4
	v_mov_b32_e32 v1, s5
	;; [unrolled: 1-line block ×8, first 2 shown]
	s_movk_i32 s20, 0xff
	v_mov_b32_e32 v16, v15
	v_mov_b64_e32 v[4:5], v[2:3]
.LBB62_3:                               ; =>This Inner Loop Header: Depth=1
	v_mad_u64_u32 v[28:29], s[22:23], s13, v5, v[8:9]
	v_mad_u64_u32 v[26:27], s[22:23], s11, v4, v[0:1]
	v_lshlrev_b16_e32 v17, 8, v28
	v_ashrrev_i32_e32 v25, 31, v4
	v_mov_b32_e32 v24, v4
	v_mad_u64_u32 v[32:33], s[22:23], s15, v7, v[12:13]
	v_add_u32_e32 v16, -4, v16
	v_bitop3_b16 v17, v26, v17, s20 bitop3:0xec
	v_ashrrev_i32_e32 v23, 31, v5
	v_mov_b32_e32 v22, v5
	v_mad_u64_u32 v[30:31], s[22:23], s14, v6, v[10:11]
	v_lshlrev_b16_e32 v3, 8, v32
	v_lshl_add_u64 v[24:25], s[8:9], 0, v[24:25]
	v_cmp_eq_u32_e32 vcc, 0, v16
	v_and_b32_e32 v17, 0xffff, v17
	v_ashrrev_i32_e32 v19, 31, v7
	v_mov_b32_e32 v18, v7
	v_ashrrev_i32_e32 v21, 31, v6
	v_mov_b32_e32 v20, v6
	v_add_u32_e32 v7, s19, v7
	v_add_u32_e32 v6, s18, v6
	;; [unrolled: 1-line block ×4, first 2 shown]
	v_lshl_add_u64 v[22:23], s[8:9], 0, v[22:23]
	v_bitop3_b16 v3, v30, v3, s20 bitop3:0xec
	s_or_b64 s[2:3], vcc, s[2:3]
	global_store_byte v[24:25], v17, off
	v_lshrrev_b32_e32 v17, 8, v17
	v_lshl_add_u64 v[20:21], s[8:9], 0, v[20:21]
	v_lshl_add_u64 v[18:19], s[8:9], 0, v[18:19]
	v_lshrrev_b32_e32 v26, 8, v3
	global_store_byte v[22:23], v17, off
	global_store_byte v[20:21], v3, off
	;; [unrolled: 1-line block ×3, first 2 shown]
	s_andn2_b64 exec, exec, s[2:3]
	s_cbranch_execnz .LBB62_3
; %bb.4:
	s_or_b64 exec, exec, s[2:3]
	v_mad_u64_u32 v[2:3], s[2:3], v15, s10, v[2:3]
	v_cmp_ne_u32_e32 vcc, v14, v15
	s_orn2_b64 s[2:3], vcc, exec
.LBB62_5:
	s_or_b64 exec, exec, s[0:1]
	s_and_b64 exec, exec, s[2:3]
	s_cbranch_execz .LBB62_8
; %bb.6:
	v_mov_b64_e32 v[0:1], s[4:5]
	s_ashr_i32 s11, s10, 31
	v_mad_u64_u32 v[0:1], s[0:1], s6, v2, v[0:1]
	v_ashrrev_i32_e32 v3, 31, v2
	s_mul_hi_u32 s0, s6, s10
	s_mul_i32 s1, s6, s11
	v_mul_lo_u32 v4, s7, v2
	v_mul_lo_u32 v5, s6, v3
	s_add_i32 s0, s0, s1
	s_mul_i32 s1, s7, s10
	v_add3_u32 v1, v4, v1, v5
	s_add_i32 s1, s0, s1
	s_mul_i32 s0, s6, s10
	s_mov_b64 s[2:3], 0
.LBB62_7:                               ; =>This Inner Loop Header: Depth=1
	v_lshl_add_u64 v[4:5], s[8:9], 0, v[2:3]
	v_lshl_add_u64 v[2:3], v[2:3], 0, s[10:11]
	v_cmp_le_i32_e32 vcc, s12, v2
	global_store_byte v[4:5], v0, off
	s_or_b64 s[2:3], vcc, s[2:3]
	v_lshl_add_u64 v[0:1], v[0:1], 0, s[0:1]
	s_andn2_b64 exec, exec, s[2:3]
	s_cbranch_execnz .LBB62_7
.LBB62_8:
	s_endpgm
	.section	.rodata,"a",@progbits
	.p2align	6, 0x0
	.amdhsa_kernel _ZN12_GLOBAL__N_141elementwise_kernel_with_index_grid_strideIiZZZN2at6native15arange_cuda_outERKN3c106ScalarES6_S6_RNS1_6TensorEENKUlvE_clEvENKUlvE_clEvEUllE_EEvT_T0_PN15function_traitsISD_E11result_typeE
		.amdhsa_group_segment_fixed_size 0
		.amdhsa_private_segment_fixed_size 0
		.amdhsa_kernarg_size 288
		.amdhsa_user_sgpr_count 2
		.amdhsa_user_sgpr_dispatch_ptr 0
		.amdhsa_user_sgpr_queue_ptr 0
		.amdhsa_user_sgpr_kernarg_segment_ptr 1
		.amdhsa_user_sgpr_dispatch_id 0
		.amdhsa_user_sgpr_kernarg_preload_length 0
		.amdhsa_user_sgpr_kernarg_preload_offset 0
		.amdhsa_user_sgpr_private_segment_size 0
		.amdhsa_uses_dynamic_stack 0
		.amdhsa_enable_private_segment 0
		.amdhsa_system_sgpr_workgroup_id_x 1
		.amdhsa_system_sgpr_workgroup_id_y 0
		.amdhsa_system_sgpr_workgroup_id_z 0
		.amdhsa_system_sgpr_workgroup_info 0
		.amdhsa_system_vgpr_workitem_id 0
		.amdhsa_next_free_vgpr 34
		.amdhsa_next_free_sgpr 24
		.amdhsa_accum_offset 36
		.amdhsa_reserve_vcc 1
		.amdhsa_float_round_mode_32 0
		.amdhsa_float_round_mode_16_64 0
		.amdhsa_float_denorm_mode_32 3
		.amdhsa_float_denorm_mode_16_64 3
		.amdhsa_dx10_clamp 1
		.amdhsa_ieee_mode 1
		.amdhsa_fp16_overflow 0
		.amdhsa_tg_split 0
		.amdhsa_exception_fp_ieee_invalid_op 0
		.amdhsa_exception_fp_denorm_src 0
		.amdhsa_exception_fp_ieee_div_zero 0
		.amdhsa_exception_fp_ieee_overflow 0
		.amdhsa_exception_fp_ieee_underflow 0
		.amdhsa_exception_fp_ieee_inexact 0
		.amdhsa_exception_int_div_zero 0
	.end_amdhsa_kernel
	.section	.text._ZN12_GLOBAL__N_141elementwise_kernel_with_index_grid_strideIiZZZN2at6native15arange_cuda_outERKN3c106ScalarES6_S6_RNS1_6TensorEENKUlvE_clEvENKUlvE_clEvEUllE_EEvT_T0_PN15function_traitsISD_E11result_typeE,"axG",@progbits,_ZN12_GLOBAL__N_141elementwise_kernel_with_index_grid_strideIiZZZN2at6native15arange_cuda_outERKN3c106ScalarES6_S6_RNS1_6TensorEENKUlvE_clEvENKUlvE_clEvEUllE_EEvT_T0_PN15function_traitsISD_E11result_typeE,comdat
.Lfunc_end62:
	.size	_ZN12_GLOBAL__N_141elementwise_kernel_with_index_grid_strideIiZZZN2at6native15arange_cuda_outERKN3c106ScalarES6_S6_RNS1_6TensorEENKUlvE_clEvENKUlvE_clEvEUllE_EEvT_T0_PN15function_traitsISD_E11result_typeE, .Lfunc_end62-_ZN12_GLOBAL__N_141elementwise_kernel_with_index_grid_strideIiZZZN2at6native15arange_cuda_outERKN3c106ScalarES6_S6_RNS1_6TensorEENKUlvE_clEvENKUlvE_clEvEUllE_EEvT_T0_PN15function_traitsISD_E11result_typeE
                                        ; -- End function
	.set _ZN12_GLOBAL__N_141elementwise_kernel_with_index_grid_strideIiZZZN2at6native15arange_cuda_outERKN3c106ScalarES6_S6_RNS1_6TensorEENKUlvE_clEvENKUlvE_clEvEUllE_EEvT_T0_PN15function_traitsISD_E11result_typeE.num_vgpr, 34
	.set _ZN12_GLOBAL__N_141elementwise_kernel_with_index_grid_strideIiZZZN2at6native15arange_cuda_outERKN3c106ScalarES6_S6_RNS1_6TensorEENKUlvE_clEvENKUlvE_clEvEUllE_EEvT_T0_PN15function_traitsISD_E11result_typeE.num_agpr, 0
	.set _ZN12_GLOBAL__N_141elementwise_kernel_with_index_grid_strideIiZZZN2at6native15arange_cuda_outERKN3c106ScalarES6_S6_RNS1_6TensorEENKUlvE_clEvENKUlvE_clEvEUllE_EEvT_T0_PN15function_traitsISD_E11result_typeE.numbered_sgpr, 24
	.set _ZN12_GLOBAL__N_141elementwise_kernel_with_index_grid_strideIiZZZN2at6native15arange_cuda_outERKN3c106ScalarES6_S6_RNS1_6TensorEENKUlvE_clEvENKUlvE_clEvEUllE_EEvT_T0_PN15function_traitsISD_E11result_typeE.num_named_barrier, 0
	.set _ZN12_GLOBAL__N_141elementwise_kernel_with_index_grid_strideIiZZZN2at6native15arange_cuda_outERKN3c106ScalarES6_S6_RNS1_6TensorEENKUlvE_clEvENKUlvE_clEvEUllE_EEvT_T0_PN15function_traitsISD_E11result_typeE.private_seg_size, 0
	.set _ZN12_GLOBAL__N_141elementwise_kernel_with_index_grid_strideIiZZZN2at6native15arange_cuda_outERKN3c106ScalarES6_S6_RNS1_6TensorEENKUlvE_clEvENKUlvE_clEvEUllE_EEvT_T0_PN15function_traitsISD_E11result_typeE.uses_vcc, 1
	.set _ZN12_GLOBAL__N_141elementwise_kernel_with_index_grid_strideIiZZZN2at6native15arange_cuda_outERKN3c106ScalarES6_S6_RNS1_6TensorEENKUlvE_clEvENKUlvE_clEvEUllE_EEvT_T0_PN15function_traitsISD_E11result_typeE.uses_flat_scratch, 0
	.set _ZN12_GLOBAL__N_141elementwise_kernel_with_index_grid_strideIiZZZN2at6native15arange_cuda_outERKN3c106ScalarES6_S6_RNS1_6TensorEENKUlvE_clEvENKUlvE_clEvEUllE_EEvT_T0_PN15function_traitsISD_E11result_typeE.has_dyn_sized_stack, 0
	.set _ZN12_GLOBAL__N_141elementwise_kernel_with_index_grid_strideIiZZZN2at6native15arange_cuda_outERKN3c106ScalarES6_S6_RNS1_6TensorEENKUlvE_clEvENKUlvE_clEvEUllE_EEvT_T0_PN15function_traitsISD_E11result_typeE.has_recursion, 0
	.set _ZN12_GLOBAL__N_141elementwise_kernel_with_index_grid_strideIiZZZN2at6native15arange_cuda_outERKN3c106ScalarES6_S6_RNS1_6TensorEENKUlvE_clEvENKUlvE_clEvEUllE_EEvT_T0_PN15function_traitsISD_E11result_typeE.has_indirect_call, 0
	.section	.AMDGPU.csdata,"",@progbits
; Kernel info:
; codeLenInByte = 740
; TotalNumSgprs: 30
; NumVgprs: 34
; NumAgprs: 0
; TotalNumVgprs: 34
; ScratchSize: 0
; MemoryBound: 0
; FloatMode: 240
; IeeeMode: 1
; LDSByteSize: 0 bytes/workgroup (compile time only)
; SGPRBlocks: 3
; VGPRBlocks: 4
; NumSGPRsForWavesPerEU: 30
; NumVGPRsForWavesPerEU: 34
; AccumOffset: 36
; Occupancy: 8
; WaveLimiterHint : 0
; COMPUTE_PGM_RSRC2:SCRATCH_EN: 0
; COMPUTE_PGM_RSRC2:USER_SGPR: 2
; COMPUTE_PGM_RSRC2:TRAP_HANDLER: 0
; COMPUTE_PGM_RSRC2:TGID_X_EN: 1
; COMPUTE_PGM_RSRC2:TGID_Y_EN: 0
; COMPUTE_PGM_RSRC2:TGID_Z_EN: 0
; COMPUTE_PGM_RSRC2:TIDIG_COMP_CNT: 0
; COMPUTE_PGM_RSRC3_GFX90A:ACCUM_OFFSET: 8
; COMPUTE_PGM_RSRC3_GFX90A:TG_SPLIT: 0
	.section	.text._ZN12_GLOBAL__N_141elementwise_kernel_with_index_grid_strideIlZZZN2at6native15arange_cuda_outERKN3c106ScalarES6_S6_RNS1_6TensorEENKUlvE_clEvENKUlvE_clEvEUllE_EEvT_T0_PN15function_traitsISD_E11result_typeE,"axG",@progbits,_ZN12_GLOBAL__N_141elementwise_kernel_with_index_grid_strideIlZZZN2at6native15arange_cuda_outERKN3c106ScalarES6_S6_RNS1_6TensorEENKUlvE_clEvENKUlvE_clEvEUllE_EEvT_T0_PN15function_traitsISD_E11result_typeE,comdat
	.globl	_ZN12_GLOBAL__N_141elementwise_kernel_with_index_grid_strideIlZZZN2at6native15arange_cuda_outERKN3c106ScalarES6_S6_RNS1_6TensorEENKUlvE_clEvENKUlvE_clEvEUllE_EEvT_T0_PN15function_traitsISD_E11result_typeE ; -- Begin function _ZN12_GLOBAL__N_141elementwise_kernel_with_index_grid_strideIlZZZN2at6native15arange_cuda_outERKN3c106ScalarES6_S6_RNS1_6TensorEENKUlvE_clEvENKUlvE_clEvEUllE_EEvT_T0_PN15function_traitsISD_E11result_typeE
	.p2align	8
	.type	_ZN12_GLOBAL__N_141elementwise_kernel_with_index_grid_strideIlZZZN2at6native15arange_cuda_outERKN3c106ScalarES6_S6_RNS1_6TensorEENKUlvE_clEvENKUlvE_clEvEUllE_EEvT_T0_PN15function_traitsISD_E11result_typeE,@function
_ZN12_GLOBAL__N_141elementwise_kernel_with_index_grid_strideIlZZZN2at6native15arange_cuda_outERKN3c106ScalarES6_S6_RNS1_6TensorEENKUlvE_clEvENKUlvE_clEvEUllE_EEvT_T0_PN15function_traitsISD_E11result_typeE: ; @_ZN12_GLOBAL__N_141elementwise_kernel_with_index_grid_strideIlZZZN2at6native15arange_cuda_outERKN3c106ScalarES6_S6_RNS1_6TensorEENKUlvE_clEvENKUlvE_clEvEUllE_EEvT_T0_PN15function_traitsISD_E11result_typeE
; %bb.0:
	s_load_dword s3, s[0:1], 0x2c
	s_load_dwordx8 s[4:11], s[0:1], 0x0
	s_add_u32 s0, s0, 32
	s_addc_u32 s1, s1, 0
	v_mov_b32_e32 v1, 0
	s_waitcnt lgkmcnt(0)
	s_and_b32 s33, s3, 0xffff
	v_mov_b32_e32 v2, s2
	v_mad_u64_u32 v[2:3], s[12:13], s33, v2, v[0:1]
	v_cmp_gt_i64_e32 vcc, s[4:5], v[2:3]
	s_and_saveexec_b64 s[12:13], vcc
	s_cbranch_execz .LBB63_12
; %bb.1:
	s_load_dword s14, s[0:1], 0x0
	v_mov_b32_e32 v4, s33
	s_mov_b32 s15, 0
	v_mov_b32_e32 v5, s15
	s_waitcnt lgkmcnt(0)
	s_add_u32 s3, s2, s14
	s_addc_u32 s18, 0, 0
	s_mul_i32 s18, s18, s33
	v_mad_u64_u32 v[6:7], s[0:1], s3, v4, v[0:1]
	v_add_u32_e32 v7, s18, v7
	v_mov_b32_e32 v4, s5
	v_cmp_gt_i64_e32 vcc, s[4:5], v[6:7]
	s_mul_hi_u32 s13, s33, s14
	s_mul_i32 s12, s33, s14
	v_cndmask_b32_e32 v9, v7, v4, vcc
	v_mov_b32_e32 v4, s4
	v_cndmask_b32_e32 v8, v6, v4, vcc
	v_cndmask_b32_e64 v4, 0, 1, vcc
	v_lshl_add_u64 v[6:7], v[6:7], 0, v[4:5]
	v_sub_co_u32_e32 v8, vcc, v8, v6
	v_mov_b32_e32 v6, v1
	s_nop 0
	v_subb_co_u32_e32 v9, vcc, v9, v7, vcc
	v_or_b32_e32 v7, s13, v9
	v_cmp_ne_u64_e32 vcc, 0, v[6:7]
                                        ; implicit-def: $vgpr6_vgpr7
	s_and_saveexec_b64 s[0:1], vcc
	s_xor_b64 s[16:17], exec, s[0:1]
	s_cbranch_execz .LBB63_3
; %bb.2:
	v_cvt_f32_u32_e32 v6, s12
	v_cvt_f32_u32_e32 v7, s13
	s_sub_u32 s19, 0, s12
	s_subb_u32 s20, 0, s13
	v_mov_b32_e32 v11, 0
	v_fmamk_f32 v6, v7, 0x4f800000, v6
	v_rcp_f32_e32 v6, v6
	s_nop 0
	v_mul_f32_e32 v6, 0x5f7ffffc, v6
	v_mul_f32_e32 v7, 0x2f800000, v6
	v_trunc_f32_e32 v7, v7
	v_fmamk_f32 v6, v7, 0xcf800000, v6
	v_cvt_u32_f32_e32 v7, v7
	v_cvt_u32_f32_e32 v6, v6
	v_readfirstlane_b32 s21, v7
	v_readfirstlane_b32 s0, v6
	s_mul_i32 s1, s19, s21
	s_mul_hi_u32 s23, s19, s0
	s_mul_i32 s22, s20, s0
	s_add_i32 s1, s23, s1
	s_mul_i32 s24, s19, s0
	s_add_i32 s1, s1, s22
	s_mul_i32 s23, s0, s1
	s_mul_hi_u32 s25, s0, s24
	s_mul_hi_u32 s22, s0, s1
	s_add_u32 s23, s25, s23
	s_addc_u32 s22, 0, s22
	s_mul_hi_u32 s26, s21, s24
	s_mul_i32 s24, s21, s24
	s_add_u32 s23, s23, s24
	s_mul_hi_u32 s25, s21, s1
	s_addc_u32 s22, s22, s26
	s_addc_u32 s23, s25, 0
	s_mul_i32 s1, s21, s1
	s_add_u32 s1, s22, s1
	s_addc_u32 s22, 0, s23
	s_add_u32 s23, s0, s1
	s_cselect_b64 s[0:1], -1, 0
	s_cmp_lg_u64 s[0:1], 0
	s_addc_u32 s21, s21, s22
	s_mul_i32 s0, s19, s21
	s_mul_hi_u32 s1, s19, s23
	s_add_i32 s0, s1, s0
	s_mul_i32 s20, s20, s23
	s_add_i32 s0, s0, s20
	s_mul_i32 s19, s19, s23
	s_mul_hi_u32 s20, s21, s19
	s_mul_i32 s22, s21, s19
	s_mul_i32 s25, s23, s0
	s_mul_hi_u32 s19, s23, s19
	s_mul_hi_u32 s24, s23, s0
	s_add_u32 s19, s19, s25
	s_addc_u32 s24, 0, s24
	s_add_u32 s19, s19, s22
	s_mul_hi_u32 s1, s21, s0
	s_addc_u32 s19, s24, s20
	s_addc_u32 s1, s1, 0
	s_mul_i32 s0, s21, s0
	s_add_u32 s0, s19, s0
	s_addc_u32 s19, 0, s1
	s_add_u32 s20, s23, s0
	s_cselect_b64 s[0:1], -1, 0
	s_cmp_lg_u64 s[0:1], 0
	s_addc_u32 s19, s21, s19
	v_mad_u64_u32 v[6:7], s[0:1], v8, s19, 0
	v_mul_hi_u32 v10, v8, s20
	v_lshl_add_u64 v[6:7], v[10:11], 0, v[6:7]
	v_mad_u64_u32 v[14:15], s[0:1], v9, s20, 0
	v_add_co_u32_e32 v6, vcc, v6, v14
	v_mad_u64_u32 v[12:13], s[0:1], v9, s19, 0
	s_nop 0
	v_addc_co_u32_e32 v10, vcc, v7, v15, vcc
	s_nop 1
	v_addc_co_u32_e32 v13, vcc, 0, v13, vcc
	v_lshl_add_u64 v[6:7], v[10:11], 0, v[12:13]
	v_mul_lo_u32 v12, s13, v6
	v_mul_lo_u32 v13, s12, v7
	v_mad_u64_u32 v[10:11], s[0:1], s12, v6, 0
	v_add3_u32 v14, v11, v13, v12
	v_sub_u32_e32 v11, v9, v14
	v_mov_b32_e32 v12, s13
	v_sub_co_u32_e32 v8, vcc, v8, v10
	s_nop 1
	v_subb_co_u32_e64 v10, s[0:1], v11, v12, vcc
	v_subrev_co_u32_e64 v11, s[0:1], s12, v8
	v_subb_co_u32_e32 v9, vcc, v9, v14, vcc
	s_nop 0
	v_subbrev_co_u32_e64 v10, s[0:1], 0, v10, s[0:1]
	v_cmp_le_u32_e64 s[0:1], s13, v10
	v_cmp_le_u32_e32 vcc, s13, v9
	s_nop 0
	v_cndmask_b32_e64 v12, 0, -1, s[0:1]
	v_cmp_le_u32_e64 s[0:1], s12, v11
	s_nop 1
	v_cndmask_b32_e64 v11, 0, -1, s[0:1]
	v_cmp_eq_u32_e64 s[0:1], s13, v10
	s_nop 1
	v_cndmask_b32_e64 v15, v12, v11, s[0:1]
	v_lshl_add_u64 v[10:11], v[6:7], 0, 2
	v_lshl_add_u64 v[12:13], v[6:7], 0, 1
	v_cmp_ne_u32_e64 s[0:1], 0, v15
	s_nop 1
	v_cndmask_b32_e64 v11, v13, v11, s[0:1]
	v_cndmask_b32_e64 v13, 0, -1, vcc
	v_cmp_le_u32_e32 vcc, s12, v8
	s_nop 1
	v_cndmask_b32_e64 v8, 0, -1, vcc
	v_cmp_eq_u32_e32 vcc, s13, v9
	s_nop 1
	v_cndmask_b32_e32 v8, v13, v8, vcc
	v_cmp_ne_u32_e32 vcc, 0, v8
	v_cndmask_b32_e64 v8, v12, v10, s[0:1]
	s_nop 0
	v_cndmask_b32_e32 v7, v7, v11, vcc
	v_cndmask_b32_e32 v6, v6, v8, vcc
                                        ; implicit-def: $vgpr8
.LBB63_3:
	s_andn2_saveexec_b64 s[0:1], s[16:17]
	s_cbranch_execz .LBB63_5
; %bb.4:
	v_cvt_f32_u32_e32 v6, s12
	s_sub_i32 s16, 0, s12
	v_rcp_iflag_f32_e32 v6, v6
	s_nop 0
	v_mul_f32_e32 v6, 0x4f7ffffe, v6
	v_cvt_u32_f32_e32 v6, v6
	v_mul_lo_u32 v7, s16, v6
	v_mul_hi_u32 v7, v6, v7
	v_add_u32_e32 v6, v6, v7
	v_mul_hi_u32 v6, v8, v6
	v_mul_lo_u32 v7, v6, s12
	v_sub_u32_e32 v7, v8, v7
	v_add_u32_e32 v9, 1, v6
	v_subrev_u32_e32 v8, s12, v7
	v_cmp_le_u32_e32 vcc, s12, v7
	s_nop 1
	v_cndmask_b32_e32 v7, v7, v8, vcc
	v_cndmask_b32_e32 v6, v6, v9, vcc
	v_add_u32_e32 v8, 1, v6
	v_cmp_le_u32_e32 vcc, s12, v7
	v_mov_b32_e32 v7, 0
	s_nop 0
	v_cndmask_b32_e32 v6, v6, v8, vcc
.LBB63_5:
	s_or_b64 exec, exec, s[0:1]
	v_lshl_add_u64 v[4:5], v[6:7], 0, v[4:5]
	v_lshl_add_u64 v[12:13], v[4:5], 0, 1
	v_cmp_lt_u64_e32 vcc, 3, v[12:13]
	s_mov_b64 s[16:17], -1
	s_and_saveexec_b64 s[0:1], vcc
	s_cbranch_execz .LBB63_9
; %bb.6:
	v_mad_u64_u32 v[8:9], s[20:21], s12, 3, v[2:3]
	v_mov_b32_e32 v10, v9
	s_mul_hi_u32 s19, s3, s33
	v_mad_u64_u32 v[6:7], s[20:21], s12, 2, v[2:3]
	v_mad_u64_u32 v[4:5], s[20:21], s12, 1, v[2:3]
	;; [unrolled: 1-line block ×3, first 2 shown]
	s_add_i32 s19, s19, s18
	s_lshl_b64 s[20:21], s[12:13], 2
	s_mul_i32 s28, s14, 3
	s_mul_i32 s18, s3, s33
	s_mul_hi_u32 s3, s14, 3
	s_add_u32 s28, s28, s2
	s_addc_u32 s3, s3, 0
	s_mul_i32 s3, s3, s33
	s_mul_hi_u32 s29, s28, s33
	s_add_i32 s29, s29, s3
	s_lshl_b64 s[30:31], s[14:15], 1
	s_mul_hi_u32 s17, s33, s2
	s_mul_i32 s16, s33, s2
	s_add_u32 s2, s30, s2
	v_lshl_add_u32 v7, s13, 1, v7
	v_add_u32_e32 v5, s13, v5
	v_mov_b32_e32 v9, v10
	s_addc_u32 s3, s31, 0
	v_and_b32_e32 v14, -4, v12
	v_mov_b32_e32 v15, v13
	s_mul_i32 s3, s3, s33
	s_mul_hi_u32 s15, s2, s33
	v_mov_b64_e32 v[10:11], v[8:9]
	s_mov_b32 s34, s8
	s_mov_b32 s35, s8
	;; [unrolled: 1-line block ×10, first 2 shown]
	s_mul_i32 s28, s28, s33
	v_lshl_add_u64 v[0:1], s[10:11], 0, v[0:1]
	s_add_i32 s3, s15, s3
	s_mul_i32 s2, s2, s33
	s_mov_b64 s[30:31], 0
	v_mov_b32_e32 v16, s6
	v_mov_b32_e32 v17, s7
	;; [unrolled: 1-line block ×8, first 2 shown]
	s_movk_i32 s15, 0xff
	v_mov_b64_e32 v[24:25], v[14:15]
	v_mov_b64_e32 v[8:9], v[6:7]
	;; [unrolled: 1-line block ×4, first 2 shown]
.LBB63_7:                               ; =>This Inner Loop Header: Depth=1
	v_mad_u64_u32 v[28:29], s[38:39], v6, s35, v[18:19]
	v_mad_u64_u32 v[26:27], s[38:39], v4, s34, v[16:17]
	v_lshlrev_b16_e32 v28, 8, v28
	v_mad_u64_u32 v[32:33], s[38:39], v10, s37, v[22:23]
	v_lshl_add_u64 v[24:25], v[24:25], 0, -4
	v_bitop3_b16 v26, v26, v28, s15 bitop3:0xec
	v_mad_u64_u32 v[30:31], s[38:39], v8, s36, v[20:21]
	v_lshl_add_u64 v[34:35], v[0:1], 0, s[16:17]
	v_lshlrev_b16_e32 v27, 8, v32
	v_cmp_eq_u64_e32 vcc, 0, v[24:25]
	v_and_b32_e32 v26, 0xffff, v26
	v_lshl_add_u64 v[36:37], v[0:1], 0, s[18:19]
	v_lshl_add_u64 v[38:39], v[0:1], 0, s[2:3]
	;; [unrolled: 1-line block ×8, first 2 shown]
	v_bitop3_b16 v27, v30, v27, s15 bitop3:0xec
	s_or_b64 s[30:31], vcc, s[30:31]
	global_store_byte v[34:35], v26, off
	v_lshrrev_b32_e32 v26, 8, v26
	v_lshrrev_b32_e32 v28, 8, v27
	global_store_byte v[36:37], v26, off
	global_store_byte v[38:39], v27, off
	;; [unrolled: 1-line block ×3, first 2 shown]
	s_andn2_b64 exec, exec, s[30:31]
	s_cbranch_execnz .LBB63_7
; %bb.8:
	s_or_b64 exec, exec, s[30:31]
	v_mad_u64_u32 v[2:3], s[2:3], v14, s12, v[2:3]
	v_mul_lo_u32 v0, v14, s13
	v_mul_lo_u32 v1, v15, s12
	v_cmp_ne_u64_e32 vcc, v[12:13], v[14:15]
	v_add3_u32 v3, v1, v3, v0
	s_orn2_b64 s[16:17], vcc, exec
.LBB63_9:
	s_or_b64 exec, exec, s[0:1]
	s_and_b64 exec, exec, s[16:17]
	s_cbranch_execz .LBB63_12
; %bb.10:
	v_mov_b64_e32 v[0:1], s[6:7]
	v_mad_u64_u32 v[0:1], s[0:1], v2, s8, v[0:1]
	s_mul_i32 s0, s9, s33
	s_mul_hi_u32 s1, s8, s33
	s_add_i32 s0, s1, s0
	s_mul_i32 s2, s8, s33
	v_mul_lo_u32 v4, v2, s9
	v_mul_lo_u32 v5, v3, s8
	s_mul_i32 s0, s0, s14
	s_mul_hi_u32 s1, s2, s14
	v_add3_u32 v1, v5, v1, v4
	s_add_i32 s1, s1, s0
	s_mul_i32 s0, s2, s14
	s_mov_b64 s[2:3], 0
.LBB63_11:                              ; =>This Inner Loop Header: Depth=1
	v_lshl_add_u64 v[4:5], s[10:11], 0, v[2:3]
	v_lshl_add_u64 v[2:3], v[2:3], 0, s[12:13]
	v_cmp_le_i64_e32 vcc, s[4:5], v[2:3]
	global_store_byte v[4:5], v0, off
	s_or_b64 s[2:3], vcc, s[2:3]
	v_lshl_add_u64 v[0:1], v[0:1], 0, s[0:1]
	s_andn2_b64 exec, exec, s[2:3]
	s_cbranch_execnz .LBB63_11
.LBB63_12:
	s_endpgm
	.section	.rodata,"a",@progbits
	.p2align	6, 0x0
	.amdhsa_kernel _ZN12_GLOBAL__N_141elementwise_kernel_with_index_grid_strideIlZZZN2at6native15arange_cuda_outERKN3c106ScalarES6_S6_RNS1_6TensorEENKUlvE_clEvENKUlvE_clEvEUllE_EEvT_T0_PN15function_traitsISD_E11result_typeE
		.amdhsa_group_segment_fixed_size 0
		.amdhsa_private_segment_fixed_size 0
		.amdhsa_kernarg_size 288
		.amdhsa_user_sgpr_count 2
		.amdhsa_user_sgpr_dispatch_ptr 0
		.amdhsa_user_sgpr_queue_ptr 0
		.amdhsa_user_sgpr_kernarg_segment_ptr 1
		.amdhsa_user_sgpr_dispatch_id 0
		.amdhsa_user_sgpr_kernarg_preload_length 0
		.amdhsa_user_sgpr_kernarg_preload_offset 0
		.amdhsa_user_sgpr_private_segment_size 0
		.amdhsa_uses_dynamic_stack 0
		.amdhsa_enable_private_segment 0
		.amdhsa_system_sgpr_workgroup_id_x 1
		.amdhsa_system_sgpr_workgroup_id_y 0
		.amdhsa_system_sgpr_workgroup_id_z 0
		.amdhsa_system_sgpr_workgroup_info 0
		.amdhsa_system_vgpr_workitem_id 0
		.amdhsa_next_free_vgpr 42
		.amdhsa_next_free_sgpr 40
		.amdhsa_accum_offset 44
		.amdhsa_reserve_vcc 1
		.amdhsa_float_round_mode_32 0
		.amdhsa_float_round_mode_16_64 0
		.amdhsa_float_denorm_mode_32 3
		.amdhsa_float_denorm_mode_16_64 3
		.amdhsa_dx10_clamp 1
		.amdhsa_ieee_mode 1
		.amdhsa_fp16_overflow 0
		.amdhsa_tg_split 0
		.amdhsa_exception_fp_ieee_invalid_op 0
		.amdhsa_exception_fp_denorm_src 0
		.amdhsa_exception_fp_ieee_div_zero 0
		.amdhsa_exception_fp_ieee_overflow 0
		.amdhsa_exception_fp_ieee_underflow 0
		.amdhsa_exception_fp_ieee_inexact 0
		.amdhsa_exception_int_div_zero 0
	.end_amdhsa_kernel
	.section	.text._ZN12_GLOBAL__N_141elementwise_kernel_with_index_grid_strideIlZZZN2at6native15arange_cuda_outERKN3c106ScalarES6_S6_RNS1_6TensorEENKUlvE_clEvENKUlvE_clEvEUllE_EEvT_T0_PN15function_traitsISD_E11result_typeE,"axG",@progbits,_ZN12_GLOBAL__N_141elementwise_kernel_with_index_grid_strideIlZZZN2at6native15arange_cuda_outERKN3c106ScalarES6_S6_RNS1_6TensorEENKUlvE_clEvENKUlvE_clEvEUllE_EEvT_T0_PN15function_traitsISD_E11result_typeE,comdat
.Lfunc_end63:
	.size	_ZN12_GLOBAL__N_141elementwise_kernel_with_index_grid_strideIlZZZN2at6native15arange_cuda_outERKN3c106ScalarES6_S6_RNS1_6TensorEENKUlvE_clEvENKUlvE_clEvEUllE_EEvT_T0_PN15function_traitsISD_E11result_typeE, .Lfunc_end63-_ZN12_GLOBAL__N_141elementwise_kernel_with_index_grid_strideIlZZZN2at6native15arange_cuda_outERKN3c106ScalarES6_S6_RNS1_6TensorEENKUlvE_clEvENKUlvE_clEvEUllE_EEvT_T0_PN15function_traitsISD_E11result_typeE
                                        ; -- End function
	.set _ZN12_GLOBAL__N_141elementwise_kernel_with_index_grid_strideIlZZZN2at6native15arange_cuda_outERKN3c106ScalarES6_S6_RNS1_6TensorEENKUlvE_clEvENKUlvE_clEvEUllE_EEvT_T0_PN15function_traitsISD_E11result_typeE.num_vgpr, 42
	.set _ZN12_GLOBAL__N_141elementwise_kernel_with_index_grid_strideIlZZZN2at6native15arange_cuda_outERKN3c106ScalarES6_S6_RNS1_6TensorEENKUlvE_clEvENKUlvE_clEvEUllE_EEvT_T0_PN15function_traitsISD_E11result_typeE.num_agpr, 0
	.set _ZN12_GLOBAL__N_141elementwise_kernel_with_index_grid_strideIlZZZN2at6native15arange_cuda_outERKN3c106ScalarES6_S6_RNS1_6TensorEENKUlvE_clEvENKUlvE_clEvEUllE_EEvT_T0_PN15function_traitsISD_E11result_typeE.numbered_sgpr, 40
	.set _ZN12_GLOBAL__N_141elementwise_kernel_with_index_grid_strideIlZZZN2at6native15arange_cuda_outERKN3c106ScalarES6_S6_RNS1_6TensorEENKUlvE_clEvENKUlvE_clEvEUllE_EEvT_T0_PN15function_traitsISD_E11result_typeE.num_named_barrier, 0
	.set _ZN12_GLOBAL__N_141elementwise_kernel_with_index_grid_strideIlZZZN2at6native15arange_cuda_outERKN3c106ScalarES6_S6_RNS1_6TensorEENKUlvE_clEvENKUlvE_clEvEUllE_EEvT_T0_PN15function_traitsISD_E11result_typeE.private_seg_size, 0
	.set _ZN12_GLOBAL__N_141elementwise_kernel_with_index_grid_strideIlZZZN2at6native15arange_cuda_outERKN3c106ScalarES6_S6_RNS1_6TensorEENKUlvE_clEvENKUlvE_clEvEUllE_EEvT_T0_PN15function_traitsISD_E11result_typeE.uses_vcc, 1
	.set _ZN12_GLOBAL__N_141elementwise_kernel_with_index_grid_strideIlZZZN2at6native15arange_cuda_outERKN3c106ScalarES6_S6_RNS1_6TensorEENKUlvE_clEvENKUlvE_clEvEUllE_EEvT_T0_PN15function_traitsISD_E11result_typeE.uses_flat_scratch, 0
	.set _ZN12_GLOBAL__N_141elementwise_kernel_with_index_grid_strideIlZZZN2at6native15arange_cuda_outERKN3c106ScalarES6_S6_RNS1_6TensorEENKUlvE_clEvENKUlvE_clEvEUllE_EEvT_T0_PN15function_traitsISD_E11result_typeE.has_dyn_sized_stack, 0
	.set _ZN12_GLOBAL__N_141elementwise_kernel_with_index_grid_strideIlZZZN2at6native15arange_cuda_outERKN3c106ScalarES6_S6_RNS1_6TensorEENKUlvE_clEvENKUlvE_clEvEUllE_EEvT_T0_PN15function_traitsISD_E11result_typeE.has_recursion, 0
	.set _ZN12_GLOBAL__N_141elementwise_kernel_with_index_grid_strideIlZZZN2at6native15arange_cuda_outERKN3c106ScalarES6_S6_RNS1_6TensorEENKUlvE_clEvENKUlvE_clEvEUllE_EEvT_T0_PN15function_traitsISD_E11result_typeE.has_indirect_call, 0
	.section	.AMDGPU.csdata,"",@progbits
; Kernel info:
; codeLenInByte = 1560
; TotalNumSgprs: 46
; NumVgprs: 42
; NumAgprs: 0
; TotalNumVgprs: 42
; ScratchSize: 0
; MemoryBound: 0
; FloatMode: 240
; IeeeMode: 1
; LDSByteSize: 0 bytes/workgroup (compile time only)
; SGPRBlocks: 5
; VGPRBlocks: 5
; NumSGPRsForWavesPerEU: 46
; NumVGPRsForWavesPerEU: 42
; AccumOffset: 44
; Occupancy: 8
; WaveLimiterHint : 0
; COMPUTE_PGM_RSRC2:SCRATCH_EN: 0
; COMPUTE_PGM_RSRC2:USER_SGPR: 2
; COMPUTE_PGM_RSRC2:TRAP_HANDLER: 0
; COMPUTE_PGM_RSRC2:TGID_X_EN: 1
; COMPUTE_PGM_RSRC2:TGID_Y_EN: 0
; COMPUTE_PGM_RSRC2:TGID_Z_EN: 0
; COMPUTE_PGM_RSRC2:TIDIG_COMP_CNT: 0
; COMPUTE_PGM_RSRC3_GFX90A:ACCUM_OFFSET: 10
; COMPUTE_PGM_RSRC3_GFX90A:TG_SPLIT: 0
	.section	.text._ZN12_GLOBAL__N_141elementwise_kernel_with_index_grid_strideIiZZZN2at6native15arange_cuda_outERKN3c106ScalarES6_S6_RNS1_6TensorEENKUlvE_clEvENKUlvE0_clEvEUllE_EEvT_T0_PN15function_traitsISD_E11result_typeE,"axG",@progbits,_ZN12_GLOBAL__N_141elementwise_kernel_with_index_grid_strideIiZZZN2at6native15arange_cuda_outERKN3c106ScalarES6_S6_RNS1_6TensorEENKUlvE_clEvENKUlvE0_clEvEUllE_EEvT_T0_PN15function_traitsISD_E11result_typeE,comdat
	.globl	_ZN12_GLOBAL__N_141elementwise_kernel_with_index_grid_strideIiZZZN2at6native15arange_cuda_outERKN3c106ScalarES6_S6_RNS1_6TensorEENKUlvE_clEvENKUlvE0_clEvEUllE_EEvT_T0_PN15function_traitsISD_E11result_typeE ; -- Begin function _ZN12_GLOBAL__N_141elementwise_kernel_with_index_grid_strideIiZZZN2at6native15arange_cuda_outERKN3c106ScalarES6_S6_RNS1_6TensorEENKUlvE_clEvENKUlvE0_clEvEUllE_EEvT_T0_PN15function_traitsISD_E11result_typeE
	.p2align	8
	.type	_ZN12_GLOBAL__N_141elementwise_kernel_with_index_grid_strideIiZZZN2at6native15arange_cuda_outERKN3c106ScalarES6_S6_RNS1_6TensorEENKUlvE_clEvENKUlvE0_clEvEUllE_EEvT_T0_PN15function_traitsISD_E11result_typeE,@function
_ZN12_GLOBAL__N_141elementwise_kernel_with_index_grid_strideIiZZZN2at6native15arange_cuda_outERKN3c106ScalarES6_S6_RNS1_6TensorEENKUlvE_clEvENKUlvE0_clEvEUllE_EEvT_T0_PN15function_traitsISD_E11result_typeE: ; @_ZN12_GLOBAL__N_141elementwise_kernel_with_index_grid_strideIiZZZN2at6native15arange_cuda_outERKN3c106ScalarES6_S6_RNS1_6TensorEENKUlvE_clEvENKUlvE0_clEvEUllE_EEvT_T0_PN15function_traitsISD_E11result_typeE
; %bb.0:
	s_load_dword s3, s[0:1], 0x2c
	s_load_dword s12, s[0:1], 0x0
	s_add_u32 s10, s0, 32
	s_addc_u32 s11, s1, 0
	s_waitcnt lgkmcnt(0)
	s_and_b32 s3, s3, 0xffff
	s_mul_i32 s4, s2, s3
	v_add_u32_e32 v2, s4, v0
	v_cmp_gt_i32_e32 vcc, s12, v2
	s_and_saveexec_b64 s[4:5], vcc
	s_cbranch_execz .LBB64_8
; %bb.1:
	s_load_dword s13, s[10:11], 0x0
	s_load_dwordx4 s[4:7], s[0:1], 0x8
	s_load_dwordx2 s[8:9], s[0:1], 0x18
	s_waitcnt lgkmcnt(0)
	s_mul_i32 s10, s13, s3
	v_cvt_f32_u32_e32 v1, s10
	s_add_i32 s0, s2, s13
	s_mul_i32 s0, s0, s3
	s_sub_i32 s2, 0, s10
	v_rcp_iflag_f32_e32 v1, v1
	v_add_u32_e32 v3, s0, v0
	v_mov_b32_e32 v4, s0
	v_max_i32_e32 v5, s12, v3
	v_mul_f32_e32 v1, 0x4f7ffffe, v1
	v_cvt_u32_f32_e32 v1, v1
	v_cmp_gt_i32_e32 vcc, s12, v3
	v_mul_lo_u32 v3, s2, v1
	s_nop 0
	v_addc_co_u32_e64 v0, s[0:1], v0, v4, vcc
	v_mul_hi_u32 v3, v1, v3
	v_sub_u32_e32 v0, v5, v0
	v_add_u32_e32 v1, v1, v3
	v_mul_hi_u32 v1, v0, v1
	v_mul_lo_u32 v3, v1, s10
	v_sub_u32_e32 v0, v0, v3
	v_add_u32_e32 v4, 1, v1
	v_cmp_le_u32_e64 s[0:1], s10, v0
	v_subrev_u32_e32 v3, s10, v0
	s_mov_b64 s[2:3], -1
	v_cndmask_b32_e64 v1, v1, v4, s[0:1]
	v_cndmask_b32_e64 v0, v0, v3, s[0:1]
	v_add_u32_e32 v3, 1, v1
	v_cmp_le_u32_e64 s[0:1], s10, v0
	s_nop 1
	v_cndmask_b32_e64 v0, v1, v3, s[0:1]
	v_addc_co_u32_e32 v14, vcc, 1, v0, vcc
	v_cmp_lt_u32_e32 vcc, 3, v14
	s_and_saveexec_b64 s[0:1], vcc
	s_cbranch_execz .LBB64_5
; %bb.2:
	v_add_u32_e32 v3, s10, v2
	v_mad_u64_u32 v[0:1], s[2:3], s10, 3, v[2:3]
	v_lshl_add_u32 v4, s10, 1, v2
	v_mov_b32_e32 v5, v0
	v_and_b32_e32 v15, -4, v14
	s_lshl_b32 s16, s10, 2
	v_mov_b64_e32 v[6:7], v[4:5]
	s_mov_b32 s11, s6
	s_mov_b32 s13, s6
	;; [unrolled: 1-line block ×7, first 2 shown]
	s_mov_b64 s[2:3], 0
	v_mov_b32_e32 v0, s4
	v_mov_b32_e32 v1, s5
	;; [unrolled: 1-line block ×8, first 2 shown]
	s_movk_i32 s20, 0xff
	v_mov_b32_e32 v16, v15
	v_mov_b64_e32 v[4:5], v[2:3]
.LBB64_3:                               ; =>This Inner Loop Header: Depth=1
	v_mad_u64_u32 v[28:29], s[22:23], s13, v5, v[8:9]
	v_mad_u64_u32 v[26:27], s[22:23], s11, v4, v[0:1]
	v_lshlrev_b16_e32 v17, 8, v28
	v_ashrrev_i32_e32 v25, 31, v4
	v_mov_b32_e32 v24, v4
	v_mad_u64_u32 v[32:33], s[22:23], s15, v7, v[12:13]
	v_add_u32_e32 v16, -4, v16
	v_bitop3_b16 v17, v26, v17, s20 bitop3:0xec
	v_ashrrev_i32_e32 v23, 31, v5
	v_mov_b32_e32 v22, v5
	v_mad_u64_u32 v[30:31], s[22:23], s14, v6, v[10:11]
	v_lshlrev_b16_e32 v3, 8, v32
	v_lshl_add_u64 v[24:25], s[8:9], 0, v[24:25]
	v_cmp_eq_u32_e32 vcc, 0, v16
	v_and_b32_e32 v17, 0xffff, v17
	v_ashrrev_i32_e32 v19, 31, v7
	v_mov_b32_e32 v18, v7
	v_ashrrev_i32_e32 v21, 31, v6
	v_mov_b32_e32 v20, v6
	v_add_u32_e32 v7, s19, v7
	v_add_u32_e32 v6, s18, v6
	;; [unrolled: 1-line block ×4, first 2 shown]
	v_lshl_add_u64 v[22:23], s[8:9], 0, v[22:23]
	v_bitop3_b16 v3, v30, v3, s20 bitop3:0xec
	s_or_b64 s[2:3], vcc, s[2:3]
	global_store_byte v[24:25], v17, off
	v_lshrrev_b32_e32 v17, 8, v17
	v_lshl_add_u64 v[20:21], s[8:9], 0, v[20:21]
	v_lshl_add_u64 v[18:19], s[8:9], 0, v[18:19]
	v_lshrrev_b32_e32 v26, 8, v3
	global_store_byte v[22:23], v17, off
	global_store_byte v[20:21], v3, off
	;; [unrolled: 1-line block ×3, first 2 shown]
	s_andn2_b64 exec, exec, s[2:3]
	s_cbranch_execnz .LBB64_3
; %bb.4:
	s_or_b64 exec, exec, s[2:3]
	v_mad_u64_u32 v[2:3], s[2:3], v15, s10, v[2:3]
	v_cmp_ne_u32_e32 vcc, v14, v15
	s_orn2_b64 s[2:3], vcc, exec
.LBB64_5:
	s_or_b64 exec, exec, s[0:1]
	s_and_b64 exec, exec, s[2:3]
	s_cbranch_execz .LBB64_8
; %bb.6:
	v_mov_b64_e32 v[0:1], s[4:5]
	s_ashr_i32 s11, s10, 31
	v_mad_u64_u32 v[0:1], s[0:1], s6, v2, v[0:1]
	v_ashrrev_i32_e32 v3, 31, v2
	s_mul_hi_u32 s0, s6, s10
	s_mul_i32 s1, s6, s11
	v_mul_lo_u32 v4, s7, v2
	v_mul_lo_u32 v5, s6, v3
	s_add_i32 s0, s0, s1
	s_mul_i32 s1, s7, s10
	v_add3_u32 v1, v4, v1, v5
	s_add_i32 s1, s0, s1
	s_mul_i32 s0, s6, s10
	s_mov_b64 s[2:3], 0
.LBB64_7:                               ; =>This Inner Loop Header: Depth=1
	v_lshl_add_u64 v[4:5], s[8:9], 0, v[2:3]
	v_lshl_add_u64 v[2:3], v[2:3], 0, s[10:11]
	v_cmp_le_i32_e32 vcc, s12, v2
	global_store_byte v[4:5], v0, off
	s_or_b64 s[2:3], vcc, s[2:3]
	v_lshl_add_u64 v[0:1], v[0:1], 0, s[0:1]
	s_andn2_b64 exec, exec, s[2:3]
	s_cbranch_execnz .LBB64_7
.LBB64_8:
	s_endpgm
	.section	.rodata,"a",@progbits
	.p2align	6, 0x0
	.amdhsa_kernel _ZN12_GLOBAL__N_141elementwise_kernel_with_index_grid_strideIiZZZN2at6native15arange_cuda_outERKN3c106ScalarES6_S6_RNS1_6TensorEENKUlvE_clEvENKUlvE0_clEvEUllE_EEvT_T0_PN15function_traitsISD_E11result_typeE
		.amdhsa_group_segment_fixed_size 0
		.amdhsa_private_segment_fixed_size 0
		.amdhsa_kernarg_size 288
		.amdhsa_user_sgpr_count 2
		.amdhsa_user_sgpr_dispatch_ptr 0
		.amdhsa_user_sgpr_queue_ptr 0
		.amdhsa_user_sgpr_kernarg_segment_ptr 1
		.amdhsa_user_sgpr_dispatch_id 0
		.amdhsa_user_sgpr_kernarg_preload_length 0
		.amdhsa_user_sgpr_kernarg_preload_offset 0
		.amdhsa_user_sgpr_private_segment_size 0
		.amdhsa_uses_dynamic_stack 0
		.amdhsa_enable_private_segment 0
		.amdhsa_system_sgpr_workgroup_id_x 1
		.amdhsa_system_sgpr_workgroup_id_y 0
		.amdhsa_system_sgpr_workgroup_id_z 0
		.amdhsa_system_sgpr_workgroup_info 0
		.amdhsa_system_vgpr_workitem_id 0
		.amdhsa_next_free_vgpr 34
		.amdhsa_next_free_sgpr 24
		.amdhsa_accum_offset 36
		.amdhsa_reserve_vcc 1
		.amdhsa_float_round_mode_32 0
		.amdhsa_float_round_mode_16_64 0
		.amdhsa_float_denorm_mode_32 3
		.amdhsa_float_denorm_mode_16_64 3
		.amdhsa_dx10_clamp 1
		.amdhsa_ieee_mode 1
		.amdhsa_fp16_overflow 0
		.amdhsa_tg_split 0
		.amdhsa_exception_fp_ieee_invalid_op 0
		.amdhsa_exception_fp_denorm_src 0
		.amdhsa_exception_fp_ieee_div_zero 0
		.amdhsa_exception_fp_ieee_overflow 0
		.amdhsa_exception_fp_ieee_underflow 0
		.amdhsa_exception_fp_ieee_inexact 0
		.amdhsa_exception_int_div_zero 0
	.end_amdhsa_kernel
	.section	.text._ZN12_GLOBAL__N_141elementwise_kernel_with_index_grid_strideIiZZZN2at6native15arange_cuda_outERKN3c106ScalarES6_S6_RNS1_6TensorEENKUlvE_clEvENKUlvE0_clEvEUllE_EEvT_T0_PN15function_traitsISD_E11result_typeE,"axG",@progbits,_ZN12_GLOBAL__N_141elementwise_kernel_with_index_grid_strideIiZZZN2at6native15arange_cuda_outERKN3c106ScalarES6_S6_RNS1_6TensorEENKUlvE_clEvENKUlvE0_clEvEUllE_EEvT_T0_PN15function_traitsISD_E11result_typeE,comdat
.Lfunc_end64:
	.size	_ZN12_GLOBAL__N_141elementwise_kernel_with_index_grid_strideIiZZZN2at6native15arange_cuda_outERKN3c106ScalarES6_S6_RNS1_6TensorEENKUlvE_clEvENKUlvE0_clEvEUllE_EEvT_T0_PN15function_traitsISD_E11result_typeE, .Lfunc_end64-_ZN12_GLOBAL__N_141elementwise_kernel_with_index_grid_strideIiZZZN2at6native15arange_cuda_outERKN3c106ScalarES6_S6_RNS1_6TensorEENKUlvE_clEvENKUlvE0_clEvEUllE_EEvT_T0_PN15function_traitsISD_E11result_typeE
                                        ; -- End function
	.set _ZN12_GLOBAL__N_141elementwise_kernel_with_index_grid_strideIiZZZN2at6native15arange_cuda_outERKN3c106ScalarES6_S6_RNS1_6TensorEENKUlvE_clEvENKUlvE0_clEvEUllE_EEvT_T0_PN15function_traitsISD_E11result_typeE.num_vgpr, 34
	.set _ZN12_GLOBAL__N_141elementwise_kernel_with_index_grid_strideIiZZZN2at6native15arange_cuda_outERKN3c106ScalarES6_S6_RNS1_6TensorEENKUlvE_clEvENKUlvE0_clEvEUllE_EEvT_T0_PN15function_traitsISD_E11result_typeE.num_agpr, 0
	.set _ZN12_GLOBAL__N_141elementwise_kernel_with_index_grid_strideIiZZZN2at6native15arange_cuda_outERKN3c106ScalarES6_S6_RNS1_6TensorEENKUlvE_clEvENKUlvE0_clEvEUllE_EEvT_T0_PN15function_traitsISD_E11result_typeE.numbered_sgpr, 24
	.set _ZN12_GLOBAL__N_141elementwise_kernel_with_index_grid_strideIiZZZN2at6native15arange_cuda_outERKN3c106ScalarES6_S6_RNS1_6TensorEENKUlvE_clEvENKUlvE0_clEvEUllE_EEvT_T0_PN15function_traitsISD_E11result_typeE.num_named_barrier, 0
	.set _ZN12_GLOBAL__N_141elementwise_kernel_with_index_grid_strideIiZZZN2at6native15arange_cuda_outERKN3c106ScalarES6_S6_RNS1_6TensorEENKUlvE_clEvENKUlvE0_clEvEUllE_EEvT_T0_PN15function_traitsISD_E11result_typeE.private_seg_size, 0
	.set _ZN12_GLOBAL__N_141elementwise_kernel_with_index_grid_strideIiZZZN2at6native15arange_cuda_outERKN3c106ScalarES6_S6_RNS1_6TensorEENKUlvE_clEvENKUlvE0_clEvEUllE_EEvT_T0_PN15function_traitsISD_E11result_typeE.uses_vcc, 1
	.set _ZN12_GLOBAL__N_141elementwise_kernel_with_index_grid_strideIiZZZN2at6native15arange_cuda_outERKN3c106ScalarES6_S6_RNS1_6TensorEENKUlvE_clEvENKUlvE0_clEvEUllE_EEvT_T0_PN15function_traitsISD_E11result_typeE.uses_flat_scratch, 0
	.set _ZN12_GLOBAL__N_141elementwise_kernel_with_index_grid_strideIiZZZN2at6native15arange_cuda_outERKN3c106ScalarES6_S6_RNS1_6TensorEENKUlvE_clEvENKUlvE0_clEvEUllE_EEvT_T0_PN15function_traitsISD_E11result_typeE.has_dyn_sized_stack, 0
	.set _ZN12_GLOBAL__N_141elementwise_kernel_with_index_grid_strideIiZZZN2at6native15arange_cuda_outERKN3c106ScalarES6_S6_RNS1_6TensorEENKUlvE_clEvENKUlvE0_clEvEUllE_EEvT_T0_PN15function_traitsISD_E11result_typeE.has_recursion, 0
	.set _ZN12_GLOBAL__N_141elementwise_kernel_with_index_grid_strideIiZZZN2at6native15arange_cuda_outERKN3c106ScalarES6_S6_RNS1_6TensorEENKUlvE_clEvENKUlvE0_clEvEUllE_EEvT_T0_PN15function_traitsISD_E11result_typeE.has_indirect_call, 0
	.section	.AMDGPU.csdata,"",@progbits
; Kernel info:
; codeLenInByte = 740
; TotalNumSgprs: 30
; NumVgprs: 34
; NumAgprs: 0
; TotalNumVgprs: 34
; ScratchSize: 0
; MemoryBound: 0
; FloatMode: 240
; IeeeMode: 1
; LDSByteSize: 0 bytes/workgroup (compile time only)
; SGPRBlocks: 3
; VGPRBlocks: 4
; NumSGPRsForWavesPerEU: 30
; NumVGPRsForWavesPerEU: 34
; AccumOffset: 36
; Occupancy: 8
; WaveLimiterHint : 0
; COMPUTE_PGM_RSRC2:SCRATCH_EN: 0
; COMPUTE_PGM_RSRC2:USER_SGPR: 2
; COMPUTE_PGM_RSRC2:TRAP_HANDLER: 0
; COMPUTE_PGM_RSRC2:TGID_X_EN: 1
; COMPUTE_PGM_RSRC2:TGID_Y_EN: 0
; COMPUTE_PGM_RSRC2:TGID_Z_EN: 0
; COMPUTE_PGM_RSRC2:TIDIG_COMP_CNT: 0
; COMPUTE_PGM_RSRC3_GFX90A:ACCUM_OFFSET: 8
; COMPUTE_PGM_RSRC3_GFX90A:TG_SPLIT: 0
	.section	.text._ZN12_GLOBAL__N_141elementwise_kernel_with_index_grid_strideIlZZZN2at6native15arange_cuda_outERKN3c106ScalarES6_S6_RNS1_6TensorEENKUlvE_clEvENKUlvE0_clEvEUllE_EEvT_T0_PN15function_traitsISD_E11result_typeE,"axG",@progbits,_ZN12_GLOBAL__N_141elementwise_kernel_with_index_grid_strideIlZZZN2at6native15arange_cuda_outERKN3c106ScalarES6_S6_RNS1_6TensorEENKUlvE_clEvENKUlvE0_clEvEUllE_EEvT_T0_PN15function_traitsISD_E11result_typeE,comdat
	.globl	_ZN12_GLOBAL__N_141elementwise_kernel_with_index_grid_strideIlZZZN2at6native15arange_cuda_outERKN3c106ScalarES6_S6_RNS1_6TensorEENKUlvE_clEvENKUlvE0_clEvEUllE_EEvT_T0_PN15function_traitsISD_E11result_typeE ; -- Begin function _ZN12_GLOBAL__N_141elementwise_kernel_with_index_grid_strideIlZZZN2at6native15arange_cuda_outERKN3c106ScalarES6_S6_RNS1_6TensorEENKUlvE_clEvENKUlvE0_clEvEUllE_EEvT_T0_PN15function_traitsISD_E11result_typeE
	.p2align	8
	.type	_ZN12_GLOBAL__N_141elementwise_kernel_with_index_grid_strideIlZZZN2at6native15arange_cuda_outERKN3c106ScalarES6_S6_RNS1_6TensorEENKUlvE_clEvENKUlvE0_clEvEUllE_EEvT_T0_PN15function_traitsISD_E11result_typeE,@function
_ZN12_GLOBAL__N_141elementwise_kernel_with_index_grid_strideIlZZZN2at6native15arange_cuda_outERKN3c106ScalarES6_S6_RNS1_6TensorEENKUlvE_clEvENKUlvE0_clEvEUllE_EEvT_T0_PN15function_traitsISD_E11result_typeE: ; @_ZN12_GLOBAL__N_141elementwise_kernel_with_index_grid_strideIlZZZN2at6native15arange_cuda_outERKN3c106ScalarES6_S6_RNS1_6TensorEENKUlvE_clEvENKUlvE0_clEvEUllE_EEvT_T0_PN15function_traitsISD_E11result_typeE
; %bb.0:
	s_load_dword s3, s[0:1], 0x2c
	s_load_dwordx8 s[4:11], s[0:1], 0x0
	s_add_u32 s0, s0, 32
	s_addc_u32 s1, s1, 0
	v_mov_b32_e32 v1, 0
	s_waitcnt lgkmcnt(0)
	s_and_b32 s33, s3, 0xffff
	v_mov_b32_e32 v2, s2
	v_mad_u64_u32 v[2:3], s[12:13], s33, v2, v[0:1]
	v_cmp_gt_i64_e32 vcc, s[4:5], v[2:3]
	s_and_saveexec_b64 s[12:13], vcc
	s_cbranch_execz .LBB65_12
; %bb.1:
	s_load_dword s14, s[0:1], 0x0
	v_mov_b32_e32 v4, s33
	s_mov_b32 s15, 0
	v_mov_b32_e32 v5, s15
	s_waitcnt lgkmcnt(0)
	s_add_u32 s3, s2, s14
	s_addc_u32 s18, 0, 0
	s_mul_i32 s18, s18, s33
	v_mad_u64_u32 v[6:7], s[0:1], s3, v4, v[0:1]
	v_add_u32_e32 v7, s18, v7
	v_mov_b32_e32 v4, s5
	v_cmp_gt_i64_e32 vcc, s[4:5], v[6:7]
	s_mul_hi_u32 s13, s33, s14
	s_mul_i32 s12, s33, s14
	v_cndmask_b32_e32 v9, v7, v4, vcc
	v_mov_b32_e32 v4, s4
	v_cndmask_b32_e32 v8, v6, v4, vcc
	v_cndmask_b32_e64 v4, 0, 1, vcc
	v_lshl_add_u64 v[6:7], v[6:7], 0, v[4:5]
	v_sub_co_u32_e32 v8, vcc, v8, v6
	v_mov_b32_e32 v6, v1
	s_nop 0
	v_subb_co_u32_e32 v9, vcc, v9, v7, vcc
	v_or_b32_e32 v7, s13, v9
	v_cmp_ne_u64_e32 vcc, 0, v[6:7]
                                        ; implicit-def: $vgpr6_vgpr7
	s_and_saveexec_b64 s[0:1], vcc
	s_xor_b64 s[16:17], exec, s[0:1]
	s_cbranch_execz .LBB65_3
; %bb.2:
	v_cvt_f32_u32_e32 v6, s12
	v_cvt_f32_u32_e32 v7, s13
	s_sub_u32 s19, 0, s12
	s_subb_u32 s20, 0, s13
	v_mov_b32_e32 v11, 0
	v_fmamk_f32 v6, v7, 0x4f800000, v6
	v_rcp_f32_e32 v6, v6
	s_nop 0
	v_mul_f32_e32 v6, 0x5f7ffffc, v6
	v_mul_f32_e32 v7, 0x2f800000, v6
	v_trunc_f32_e32 v7, v7
	v_fmamk_f32 v6, v7, 0xcf800000, v6
	v_cvt_u32_f32_e32 v7, v7
	v_cvt_u32_f32_e32 v6, v6
	v_readfirstlane_b32 s21, v7
	v_readfirstlane_b32 s0, v6
	s_mul_i32 s1, s19, s21
	s_mul_hi_u32 s23, s19, s0
	s_mul_i32 s22, s20, s0
	s_add_i32 s1, s23, s1
	s_mul_i32 s24, s19, s0
	s_add_i32 s1, s1, s22
	s_mul_i32 s23, s0, s1
	s_mul_hi_u32 s25, s0, s24
	s_mul_hi_u32 s22, s0, s1
	s_add_u32 s23, s25, s23
	s_addc_u32 s22, 0, s22
	s_mul_hi_u32 s26, s21, s24
	s_mul_i32 s24, s21, s24
	s_add_u32 s23, s23, s24
	s_mul_hi_u32 s25, s21, s1
	s_addc_u32 s22, s22, s26
	s_addc_u32 s23, s25, 0
	s_mul_i32 s1, s21, s1
	s_add_u32 s1, s22, s1
	s_addc_u32 s22, 0, s23
	s_add_u32 s23, s0, s1
	s_cselect_b64 s[0:1], -1, 0
	s_cmp_lg_u64 s[0:1], 0
	s_addc_u32 s21, s21, s22
	s_mul_i32 s0, s19, s21
	s_mul_hi_u32 s1, s19, s23
	s_add_i32 s0, s1, s0
	s_mul_i32 s20, s20, s23
	s_add_i32 s0, s0, s20
	s_mul_i32 s19, s19, s23
	s_mul_hi_u32 s20, s21, s19
	s_mul_i32 s22, s21, s19
	s_mul_i32 s25, s23, s0
	s_mul_hi_u32 s19, s23, s19
	s_mul_hi_u32 s24, s23, s0
	s_add_u32 s19, s19, s25
	s_addc_u32 s24, 0, s24
	s_add_u32 s19, s19, s22
	s_mul_hi_u32 s1, s21, s0
	s_addc_u32 s19, s24, s20
	s_addc_u32 s1, s1, 0
	s_mul_i32 s0, s21, s0
	s_add_u32 s0, s19, s0
	s_addc_u32 s19, 0, s1
	s_add_u32 s20, s23, s0
	s_cselect_b64 s[0:1], -1, 0
	s_cmp_lg_u64 s[0:1], 0
	s_addc_u32 s19, s21, s19
	v_mad_u64_u32 v[6:7], s[0:1], v8, s19, 0
	v_mul_hi_u32 v10, v8, s20
	v_lshl_add_u64 v[6:7], v[10:11], 0, v[6:7]
	v_mad_u64_u32 v[14:15], s[0:1], v9, s20, 0
	v_add_co_u32_e32 v6, vcc, v6, v14
	v_mad_u64_u32 v[12:13], s[0:1], v9, s19, 0
	s_nop 0
	v_addc_co_u32_e32 v10, vcc, v7, v15, vcc
	s_nop 1
	v_addc_co_u32_e32 v13, vcc, 0, v13, vcc
	v_lshl_add_u64 v[6:7], v[10:11], 0, v[12:13]
	v_mul_lo_u32 v12, s13, v6
	v_mul_lo_u32 v13, s12, v7
	v_mad_u64_u32 v[10:11], s[0:1], s12, v6, 0
	v_add3_u32 v14, v11, v13, v12
	v_sub_u32_e32 v11, v9, v14
	v_mov_b32_e32 v12, s13
	v_sub_co_u32_e32 v8, vcc, v8, v10
	s_nop 1
	v_subb_co_u32_e64 v10, s[0:1], v11, v12, vcc
	v_subrev_co_u32_e64 v11, s[0:1], s12, v8
	v_subb_co_u32_e32 v9, vcc, v9, v14, vcc
	s_nop 0
	v_subbrev_co_u32_e64 v10, s[0:1], 0, v10, s[0:1]
	v_cmp_le_u32_e64 s[0:1], s13, v10
	v_cmp_le_u32_e32 vcc, s13, v9
	s_nop 0
	v_cndmask_b32_e64 v12, 0, -1, s[0:1]
	v_cmp_le_u32_e64 s[0:1], s12, v11
	s_nop 1
	v_cndmask_b32_e64 v11, 0, -1, s[0:1]
	v_cmp_eq_u32_e64 s[0:1], s13, v10
	s_nop 1
	v_cndmask_b32_e64 v15, v12, v11, s[0:1]
	v_lshl_add_u64 v[10:11], v[6:7], 0, 2
	v_lshl_add_u64 v[12:13], v[6:7], 0, 1
	v_cmp_ne_u32_e64 s[0:1], 0, v15
	s_nop 1
	v_cndmask_b32_e64 v11, v13, v11, s[0:1]
	v_cndmask_b32_e64 v13, 0, -1, vcc
	v_cmp_le_u32_e32 vcc, s12, v8
	s_nop 1
	v_cndmask_b32_e64 v8, 0, -1, vcc
	v_cmp_eq_u32_e32 vcc, s13, v9
	s_nop 1
	v_cndmask_b32_e32 v8, v13, v8, vcc
	v_cmp_ne_u32_e32 vcc, 0, v8
	v_cndmask_b32_e64 v8, v12, v10, s[0:1]
	s_nop 0
	v_cndmask_b32_e32 v7, v7, v11, vcc
	v_cndmask_b32_e32 v6, v6, v8, vcc
                                        ; implicit-def: $vgpr8
.LBB65_3:
	s_andn2_saveexec_b64 s[0:1], s[16:17]
	s_cbranch_execz .LBB65_5
; %bb.4:
	v_cvt_f32_u32_e32 v6, s12
	s_sub_i32 s16, 0, s12
	v_rcp_iflag_f32_e32 v6, v6
	s_nop 0
	v_mul_f32_e32 v6, 0x4f7ffffe, v6
	v_cvt_u32_f32_e32 v6, v6
	v_mul_lo_u32 v7, s16, v6
	v_mul_hi_u32 v7, v6, v7
	v_add_u32_e32 v6, v6, v7
	v_mul_hi_u32 v6, v8, v6
	v_mul_lo_u32 v7, v6, s12
	v_sub_u32_e32 v7, v8, v7
	v_add_u32_e32 v9, 1, v6
	v_subrev_u32_e32 v8, s12, v7
	v_cmp_le_u32_e32 vcc, s12, v7
	s_nop 1
	v_cndmask_b32_e32 v7, v7, v8, vcc
	v_cndmask_b32_e32 v6, v6, v9, vcc
	v_add_u32_e32 v8, 1, v6
	v_cmp_le_u32_e32 vcc, s12, v7
	v_mov_b32_e32 v7, 0
	s_nop 0
	v_cndmask_b32_e32 v6, v6, v8, vcc
.LBB65_5:
	s_or_b64 exec, exec, s[0:1]
	v_lshl_add_u64 v[4:5], v[6:7], 0, v[4:5]
	v_lshl_add_u64 v[12:13], v[4:5], 0, 1
	v_cmp_lt_u64_e32 vcc, 3, v[12:13]
	s_mov_b64 s[16:17], -1
	s_and_saveexec_b64 s[0:1], vcc
	s_cbranch_execz .LBB65_9
; %bb.6:
	v_mad_u64_u32 v[8:9], s[20:21], s12, 3, v[2:3]
	v_mov_b32_e32 v10, v9
	s_mul_hi_u32 s19, s3, s33
	v_mad_u64_u32 v[6:7], s[20:21], s12, 2, v[2:3]
	v_mad_u64_u32 v[4:5], s[20:21], s12, 1, v[2:3]
	;; [unrolled: 1-line block ×3, first 2 shown]
	s_add_i32 s19, s19, s18
	s_lshl_b64 s[20:21], s[12:13], 2
	s_mul_i32 s28, s14, 3
	s_mul_i32 s18, s3, s33
	s_mul_hi_u32 s3, s14, 3
	s_add_u32 s28, s28, s2
	s_addc_u32 s3, s3, 0
	s_mul_i32 s3, s3, s33
	s_mul_hi_u32 s29, s28, s33
	s_add_i32 s29, s29, s3
	s_lshl_b64 s[30:31], s[14:15], 1
	s_mul_hi_u32 s17, s33, s2
	s_mul_i32 s16, s33, s2
	s_add_u32 s2, s30, s2
	v_lshl_add_u32 v7, s13, 1, v7
	v_add_u32_e32 v5, s13, v5
	v_mov_b32_e32 v9, v10
	s_addc_u32 s3, s31, 0
	v_and_b32_e32 v14, -4, v12
	v_mov_b32_e32 v15, v13
	s_mul_i32 s3, s3, s33
	s_mul_hi_u32 s15, s2, s33
	v_mov_b64_e32 v[10:11], v[8:9]
	s_mov_b32 s34, s8
	s_mov_b32 s35, s8
	s_mov_b32 s36, s8
	s_mov_b32 s37, s8
	s_mov_b32 s22, s20
	s_mov_b32 s23, s21
	s_mov_b32 s24, s20
	s_mov_b32 s25, s21
	s_mov_b32 s26, s20
	s_mov_b32 s27, s21
	s_mul_i32 s28, s28, s33
	v_lshl_add_u64 v[0:1], s[10:11], 0, v[0:1]
	s_add_i32 s3, s15, s3
	s_mul_i32 s2, s2, s33
	s_mov_b64 s[30:31], 0
	v_mov_b32_e32 v16, s6
	v_mov_b32_e32 v17, s7
	;; [unrolled: 1-line block ×8, first 2 shown]
	s_movk_i32 s15, 0xff
	v_mov_b64_e32 v[24:25], v[14:15]
	v_mov_b64_e32 v[8:9], v[6:7]
	;; [unrolled: 1-line block ×4, first 2 shown]
.LBB65_7:                               ; =>This Inner Loop Header: Depth=1
	v_mad_u64_u32 v[28:29], s[38:39], v6, s35, v[18:19]
	v_mad_u64_u32 v[26:27], s[38:39], v4, s34, v[16:17]
	v_lshlrev_b16_e32 v28, 8, v28
	v_mad_u64_u32 v[32:33], s[38:39], v10, s37, v[22:23]
	v_lshl_add_u64 v[24:25], v[24:25], 0, -4
	v_bitop3_b16 v26, v26, v28, s15 bitop3:0xec
	v_mad_u64_u32 v[30:31], s[38:39], v8, s36, v[20:21]
	v_lshl_add_u64 v[34:35], v[0:1], 0, s[16:17]
	v_lshlrev_b16_e32 v27, 8, v32
	v_cmp_eq_u64_e32 vcc, 0, v[24:25]
	v_and_b32_e32 v26, 0xffff, v26
	v_lshl_add_u64 v[36:37], v[0:1], 0, s[18:19]
	v_lshl_add_u64 v[38:39], v[0:1], 0, s[2:3]
	;; [unrolled: 1-line block ×8, first 2 shown]
	v_bitop3_b16 v27, v30, v27, s15 bitop3:0xec
	s_or_b64 s[30:31], vcc, s[30:31]
	global_store_byte v[34:35], v26, off
	v_lshrrev_b32_e32 v26, 8, v26
	v_lshrrev_b32_e32 v28, 8, v27
	global_store_byte v[36:37], v26, off
	global_store_byte v[38:39], v27, off
	;; [unrolled: 1-line block ×3, first 2 shown]
	s_andn2_b64 exec, exec, s[30:31]
	s_cbranch_execnz .LBB65_7
; %bb.8:
	s_or_b64 exec, exec, s[30:31]
	v_mad_u64_u32 v[2:3], s[2:3], v14, s12, v[2:3]
	v_mul_lo_u32 v0, v14, s13
	v_mul_lo_u32 v1, v15, s12
	v_cmp_ne_u64_e32 vcc, v[12:13], v[14:15]
	v_add3_u32 v3, v1, v3, v0
	s_orn2_b64 s[16:17], vcc, exec
.LBB65_9:
	s_or_b64 exec, exec, s[0:1]
	s_and_b64 exec, exec, s[16:17]
	s_cbranch_execz .LBB65_12
; %bb.10:
	v_mov_b64_e32 v[0:1], s[6:7]
	v_mad_u64_u32 v[0:1], s[0:1], v2, s8, v[0:1]
	s_mul_i32 s0, s9, s33
	s_mul_hi_u32 s1, s8, s33
	s_add_i32 s0, s1, s0
	s_mul_i32 s2, s8, s33
	v_mul_lo_u32 v4, v2, s9
	v_mul_lo_u32 v5, v3, s8
	s_mul_i32 s0, s0, s14
	s_mul_hi_u32 s1, s2, s14
	v_add3_u32 v1, v5, v1, v4
	s_add_i32 s1, s1, s0
	s_mul_i32 s0, s2, s14
	s_mov_b64 s[2:3], 0
.LBB65_11:                              ; =>This Inner Loop Header: Depth=1
	v_lshl_add_u64 v[4:5], s[10:11], 0, v[2:3]
	v_lshl_add_u64 v[2:3], v[2:3], 0, s[12:13]
	v_cmp_le_i64_e32 vcc, s[4:5], v[2:3]
	global_store_byte v[4:5], v0, off
	s_or_b64 s[2:3], vcc, s[2:3]
	v_lshl_add_u64 v[0:1], v[0:1], 0, s[0:1]
	s_andn2_b64 exec, exec, s[2:3]
	s_cbranch_execnz .LBB65_11
.LBB65_12:
	s_endpgm
	.section	.rodata,"a",@progbits
	.p2align	6, 0x0
	.amdhsa_kernel _ZN12_GLOBAL__N_141elementwise_kernel_with_index_grid_strideIlZZZN2at6native15arange_cuda_outERKN3c106ScalarES6_S6_RNS1_6TensorEENKUlvE_clEvENKUlvE0_clEvEUllE_EEvT_T0_PN15function_traitsISD_E11result_typeE
		.amdhsa_group_segment_fixed_size 0
		.amdhsa_private_segment_fixed_size 0
		.amdhsa_kernarg_size 288
		.amdhsa_user_sgpr_count 2
		.amdhsa_user_sgpr_dispatch_ptr 0
		.amdhsa_user_sgpr_queue_ptr 0
		.amdhsa_user_sgpr_kernarg_segment_ptr 1
		.amdhsa_user_sgpr_dispatch_id 0
		.amdhsa_user_sgpr_kernarg_preload_length 0
		.amdhsa_user_sgpr_kernarg_preload_offset 0
		.amdhsa_user_sgpr_private_segment_size 0
		.amdhsa_uses_dynamic_stack 0
		.amdhsa_enable_private_segment 0
		.amdhsa_system_sgpr_workgroup_id_x 1
		.amdhsa_system_sgpr_workgroup_id_y 0
		.amdhsa_system_sgpr_workgroup_id_z 0
		.amdhsa_system_sgpr_workgroup_info 0
		.amdhsa_system_vgpr_workitem_id 0
		.amdhsa_next_free_vgpr 42
		.amdhsa_next_free_sgpr 40
		.amdhsa_accum_offset 44
		.amdhsa_reserve_vcc 1
		.amdhsa_float_round_mode_32 0
		.amdhsa_float_round_mode_16_64 0
		.amdhsa_float_denorm_mode_32 3
		.amdhsa_float_denorm_mode_16_64 3
		.amdhsa_dx10_clamp 1
		.amdhsa_ieee_mode 1
		.amdhsa_fp16_overflow 0
		.amdhsa_tg_split 0
		.amdhsa_exception_fp_ieee_invalid_op 0
		.amdhsa_exception_fp_denorm_src 0
		.amdhsa_exception_fp_ieee_div_zero 0
		.amdhsa_exception_fp_ieee_overflow 0
		.amdhsa_exception_fp_ieee_underflow 0
		.amdhsa_exception_fp_ieee_inexact 0
		.amdhsa_exception_int_div_zero 0
	.end_amdhsa_kernel
	.section	.text._ZN12_GLOBAL__N_141elementwise_kernel_with_index_grid_strideIlZZZN2at6native15arange_cuda_outERKN3c106ScalarES6_S6_RNS1_6TensorEENKUlvE_clEvENKUlvE0_clEvEUllE_EEvT_T0_PN15function_traitsISD_E11result_typeE,"axG",@progbits,_ZN12_GLOBAL__N_141elementwise_kernel_with_index_grid_strideIlZZZN2at6native15arange_cuda_outERKN3c106ScalarES6_S6_RNS1_6TensorEENKUlvE_clEvENKUlvE0_clEvEUllE_EEvT_T0_PN15function_traitsISD_E11result_typeE,comdat
.Lfunc_end65:
	.size	_ZN12_GLOBAL__N_141elementwise_kernel_with_index_grid_strideIlZZZN2at6native15arange_cuda_outERKN3c106ScalarES6_S6_RNS1_6TensorEENKUlvE_clEvENKUlvE0_clEvEUllE_EEvT_T0_PN15function_traitsISD_E11result_typeE, .Lfunc_end65-_ZN12_GLOBAL__N_141elementwise_kernel_with_index_grid_strideIlZZZN2at6native15arange_cuda_outERKN3c106ScalarES6_S6_RNS1_6TensorEENKUlvE_clEvENKUlvE0_clEvEUllE_EEvT_T0_PN15function_traitsISD_E11result_typeE
                                        ; -- End function
	.set _ZN12_GLOBAL__N_141elementwise_kernel_with_index_grid_strideIlZZZN2at6native15arange_cuda_outERKN3c106ScalarES6_S6_RNS1_6TensorEENKUlvE_clEvENKUlvE0_clEvEUllE_EEvT_T0_PN15function_traitsISD_E11result_typeE.num_vgpr, 42
	.set _ZN12_GLOBAL__N_141elementwise_kernel_with_index_grid_strideIlZZZN2at6native15arange_cuda_outERKN3c106ScalarES6_S6_RNS1_6TensorEENKUlvE_clEvENKUlvE0_clEvEUllE_EEvT_T0_PN15function_traitsISD_E11result_typeE.num_agpr, 0
	.set _ZN12_GLOBAL__N_141elementwise_kernel_with_index_grid_strideIlZZZN2at6native15arange_cuda_outERKN3c106ScalarES6_S6_RNS1_6TensorEENKUlvE_clEvENKUlvE0_clEvEUllE_EEvT_T0_PN15function_traitsISD_E11result_typeE.numbered_sgpr, 40
	.set _ZN12_GLOBAL__N_141elementwise_kernel_with_index_grid_strideIlZZZN2at6native15arange_cuda_outERKN3c106ScalarES6_S6_RNS1_6TensorEENKUlvE_clEvENKUlvE0_clEvEUllE_EEvT_T0_PN15function_traitsISD_E11result_typeE.num_named_barrier, 0
	.set _ZN12_GLOBAL__N_141elementwise_kernel_with_index_grid_strideIlZZZN2at6native15arange_cuda_outERKN3c106ScalarES6_S6_RNS1_6TensorEENKUlvE_clEvENKUlvE0_clEvEUllE_EEvT_T0_PN15function_traitsISD_E11result_typeE.private_seg_size, 0
	.set _ZN12_GLOBAL__N_141elementwise_kernel_with_index_grid_strideIlZZZN2at6native15arange_cuda_outERKN3c106ScalarES6_S6_RNS1_6TensorEENKUlvE_clEvENKUlvE0_clEvEUllE_EEvT_T0_PN15function_traitsISD_E11result_typeE.uses_vcc, 1
	.set _ZN12_GLOBAL__N_141elementwise_kernel_with_index_grid_strideIlZZZN2at6native15arange_cuda_outERKN3c106ScalarES6_S6_RNS1_6TensorEENKUlvE_clEvENKUlvE0_clEvEUllE_EEvT_T0_PN15function_traitsISD_E11result_typeE.uses_flat_scratch, 0
	.set _ZN12_GLOBAL__N_141elementwise_kernel_with_index_grid_strideIlZZZN2at6native15arange_cuda_outERKN3c106ScalarES6_S6_RNS1_6TensorEENKUlvE_clEvENKUlvE0_clEvEUllE_EEvT_T0_PN15function_traitsISD_E11result_typeE.has_dyn_sized_stack, 0
	.set _ZN12_GLOBAL__N_141elementwise_kernel_with_index_grid_strideIlZZZN2at6native15arange_cuda_outERKN3c106ScalarES6_S6_RNS1_6TensorEENKUlvE_clEvENKUlvE0_clEvEUllE_EEvT_T0_PN15function_traitsISD_E11result_typeE.has_recursion, 0
	.set _ZN12_GLOBAL__N_141elementwise_kernel_with_index_grid_strideIlZZZN2at6native15arange_cuda_outERKN3c106ScalarES6_S6_RNS1_6TensorEENKUlvE_clEvENKUlvE0_clEvEUllE_EEvT_T0_PN15function_traitsISD_E11result_typeE.has_indirect_call, 0
	.section	.AMDGPU.csdata,"",@progbits
; Kernel info:
; codeLenInByte = 1560
; TotalNumSgprs: 46
; NumVgprs: 42
; NumAgprs: 0
; TotalNumVgprs: 42
; ScratchSize: 0
; MemoryBound: 0
; FloatMode: 240
; IeeeMode: 1
; LDSByteSize: 0 bytes/workgroup (compile time only)
; SGPRBlocks: 5
; VGPRBlocks: 5
; NumSGPRsForWavesPerEU: 46
; NumVGPRsForWavesPerEU: 42
; AccumOffset: 44
; Occupancy: 8
; WaveLimiterHint : 0
; COMPUTE_PGM_RSRC2:SCRATCH_EN: 0
; COMPUTE_PGM_RSRC2:USER_SGPR: 2
; COMPUTE_PGM_RSRC2:TRAP_HANDLER: 0
; COMPUTE_PGM_RSRC2:TGID_X_EN: 1
; COMPUTE_PGM_RSRC2:TGID_Y_EN: 0
; COMPUTE_PGM_RSRC2:TGID_Z_EN: 0
; COMPUTE_PGM_RSRC2:TIDIG_COMP_CNT: 0
; COMPUTE_PGM_RSRC3_GFX90A:ACCUM_OFFSET: 10
; COMPUTE_PGM_RSRC3_GFX90A:TG_SPLIT: 0
	.section	.text._ZN12_GLOBAL__N_141elementwise_kernel_with_index_grid_strideIiZZZN2at6native15arange_cuda_outERKN3c106ScalarES6_S6_RNS1_6TensorEENKUlvE_clEvENKUlvE1_clEvEUllE_EEvT_T0_PN15function_traitsISD_E11result_typeE,"axG",@progbits,_ZN12_GLOBAL__N_141elementwise_kernel_with_index_grid_strideIiZZZN2at6native15arange_cuda_outERKN3c106ScalarES6_S6_RNS1_6TensorEENKUlvE_clEvENKUlvE1_clEvEUllE_EEvT_T0_PN15function_traitsISD_E11result_typeE,comdat
	.globl	_ZN12_GLOBAL__N_141elementwise_kernel_with_index_grid_strideIiZZZN2at6native15arange_cuda_outERKN3c106ScalarES6_S6_RNS1_6TensorEENKUlvE_clEvENKUlvE1_clEvEUllE_EEvT_T0_PN15function_traitsISD_E11result_typeE ; -- Begin function _ZN12_GLOBAL__N_141elementwise_kernel_with_index_grid_strideIiZZZN2at6native15arange_cuda_outERKN3c106ScalarES6_S6_RNS1_6TensorEENKUlvE_clEvENKUlvE1_clEvEUllE_EEvT_T0_PN15function_traitsISD_E11result_typeE
	.p2align	8
	.type	_ZN12_GLOBAL__N_141elementwise_kernel_with_index_grid_strideIiZZZN2at6native15arange_cuda_outERKN3c106ScalarES6_S6_RNS1_6TensorEENKUlvE_clEvENKUlvE1_clEvEUllE_EEvT_T0_PN15function_traitsISD_E11result_typeE,@function
_ZN12_GLOBAL__N_141elementwise_kernel_with_index_grid_strideIiZZZN2at6native15arange_cuda_outERKN3c106ScalarES6_S6_RNS1_6TensorEENKUlvE_clEvENKUlvE1_clEvEUllE_EEvT_T0_PN15function_traitsISD_E11result_typeE: ; @_ZN12_GLOBAL__N_141elementwise_kernel_with_index_grid_strideIiZZZN2at6native15arange_cuda_outERKN3c106ScalarES6_S6_RNS1_6TensorEENKUlvE_clEvENKUlvE1_clEvEUllE_EEvT_T0_PN15function_traitsISD_E11result_typeE
; %bb.0:
	s_load_dword s3, s[0:1], 0x2c
	s_load_dword s12, s[0:1], 0x0
	s_add_u32 s8, s0, 32
	s_addc_u32 s9, s1, 0
	s_waitcnt lgkmcnt(0)
	s_and_b32 s3, s3, 0xffff
	s_mul_i32 s4, s2, s3
	v_add_u32_e32 v2, s4, v0
	v_cmp_gt_i32_e32 vcc, s12, v2
	s_and_saveexec_b64 s[4:5], vcc
	s_cbranch_execz .LBB66_8
; %bb.1:
	s_load_dword s13, s[8:9], 0x0
	s_load_dwordx4 s[4:7], s[0:1], 0x8
	s_load_dwordx2 s[10:11], s[0:1], 0x18
	s_waitcnt lgkmcnt(0)
	s_mul_i32 s8, s13, s3
	v_cvt_f32_u32_e32 v1, s8
	s_add_i32 s0, s2, s13
	s_mul_i32 s0, s0, s3
	s_sub_i32 s2, 0, s8
	v_rcp_iflag_f32_e32 v1, v1
	v_add_u32_e32 v3, s0, v0
	v_mov_b32_e32 v4, s0
	v_max_i32_e32 v5, s12, v3
	v_mul_f32_e32 v1, 0x4f7ffffe, v1
	v_cvt_u32_f32_e32 v1, v1
	v_cmp_gt_i32_e32 vcc, s12, v3
	v_mul_lo_u32 v3, s2, v1
	s_nop 0
	v_addc_co_u32_e64 v0, s[0:1], v0, v4, vcc
	v_mul_hi_u32 v3, v1, v3
	v_sub_u32_e32 v0, v5, v0
	v_add_u32_e32 v1, v1, v3
	v_mul_hi_u32 v1, v0, v1
	v_mul_lo_u32 v3, v1, s8
	v_sub_u32_e32 v0, v0, v3
	v_add_u32_e32 v4, 1, v1
	v_cmp_le_u32_e64 s[0:1], s8, v0
	v_subrev_u32_e32 v3, s8, v0
	s_mov_b64 s[2:3], -1
	v_cndmask_b32_e64 v1, v1, v4, s[0:1]
	v_cndmask_b32_e64 v0, v0, v3, s[0:1]
	v_add_u32_e32 v3, 1, v1
	v_cmp_le_u32_e64 s[0:1], s8, v0
	s_nop 1
	v_cndmask_b32_e64 v0, v1, v3, s[0:1]
	v_addc_co_u32_e32 v4, vcc, 1, v0, vcc
	v_cmp_lt_u32_e32 vcc, 1, v4
	s_and_saveexec_b64 s[0:1], vcc
	s_cbranch_execz .LBB66_5
; %bb.2:
	v_and_b32_e32 v5, -2, v4
	v_add_u32_e32 v3, s8, v2
	s_lshl_b32 s14, s8, 1
	s_mov_b32 s5, s6
	s_mov_b32 s7, s6
	;; [unrolled: 1-line block ×5, first 2 shown]
	s_mov_b64 s[2:3], 0
	v_mov_b32_e32 v6, v5
	v_mov_b64_e32 v[0:1], v[2:3]
.LBB66_3:                               ; =>This Inner Loop Header: Depth=1
	v_add_u32_e32 v6, -2, v6
	v_ashrrev_i32_e32 v9, 31, v1
	v_mov_b32_e32 v8, v1
	v_ashrrev_i32_e32 v11, 31, v0
	v_mov_b32_e32 v10, v0
	v_mul_lo_u32 v3, s5, v0
	v_mul_lo_u32 v7, s7, v1
	v_cmp_eq_u32_e32 vcc, 0, v6
	v_add_u32_e32 v1, s15, v1
	v_add_u32_e32 v0, s14, v0
	;; [unrolled: 1-line block ×4, first 2 shown]
	v_lshl_add_u64 v[10:11], v[10:11], 2, s[10:11]
	v_lshl_add_u64 v[8:9], v[8:9], 2, s[10:11]
	s_or_b64 s[2:3], vcc, s[2:3]
	global_store_dword v[10:11], v3, off
	global_store_dword v[8:9], v7, off
	s_andn2_b64 exec, exec, s[2:3]
	s_cbranch_execnz .LBB66_3
; %bb.4:
	s_or_b64 exec, exec, s[2:3]
	v_mad_u64_u32 v[2:3], s[2:3], v5, s8, v[2:3]
	v_cmp_ne_u32_e32 vcc, v4, v5
	s_orn2_b64 s[2:3], vcc, exec
.LBB66_5:
	s_or_b64 exec, exec, s[0:1]
	s_and_b64 exec, exec, s[2:3]
	s_cbranch_execz .LBB66_8
; %bb.6:
	v_ashrrev_i32_e32 v3, 31, v2
	v_lshl_add_u64 v[0:1], v[2:3], 2, s[10:11]
	s_ashr_i32 s9, s8, 31
	v_mul_lo_u32 v3, v2, s6
	s_lshl_b64 s[0:1], s[8:9], 2
	v_add_u32_e32 v3, s4, v3
	s_mul_i32 s4, s8, s6
	s_mov_b64 s[2:3], 0
.LBB66_7:                               ; =>This Inner Loop Header: Depth=1
	v_add_u32_e32 v2, s8, v2
	v_cmp_le_i32_e32 vcc, s12, v2
	global_store_dword v[0:1], v3, off
	v_lshl_add_u64 v[0:1], v[0:1], 0, s[0:1]
	s_or_b64 s[2:3], vcc, s[2:3]
	v_add_u32_e32 v3, s4, v3
	s_andn2_b64 exec, exec, s[2:3]
	s_cbranch_execnz .LBB66_7
.LBB66_8:
	s_endpgm
	.section	.rodata,"a",@progbits
	.p2align	6, 0x0
	.amdhsa_kernel _ZN12_GLOBAL__N_141elementwise_kernel_with_index_grid_strideIiZZZN2at6native15arange_cuda_outERKN3c106ScalarES6_S6_RNS1_6TensorEENKUlvE_clEvENKUlvE1_clEvEUllE_EEvT_T0_PN15function_traitsISD_E11result_typeE
		.amdhsa_group_segment_fixed_size 0
		.amdhsa_private_segment_fixed_size 0
		.amdhsa_kernarg_size 288
		.amdhsa_user_sgpr_count 2
		.amdhsa_user_sgpr_dispatch_ptr 0
		.amdhsa_user_sgpr_queue_ptr 0
		.amdhsa_user_sgpr_kernarg_segment_ptr 1
		.amdhsa_user_sgpr_dispatch_id 0
		.amdhsa_user_sgpr_kernarg_preload_length 0
		.amdhsa_user_sgpr_kernarg_preload_offset 0
		.amdhsa_user_sgpr_private_segment_size 0
		.amdhsa_uses_dynamic_stack 0
		.amdhsa_enable_private_segment 0
		.amdhsa_system_sgpr_workgroup_id_x 1
		.amdhsa_system_sgpr_workgroup_id_y 0
		.amdhsa_system_sgpr_workgroup_id_z 0
		.amdhsa_system_sgpr_workgroup_info 0
		.amdhsa_system_vgpr_workitem_id 0
		.amdhsa_next_free_vgpr 12
		.amdhsa_next_free_sgpr 16
		.amdhsa_accum_offset 12
		.amdhsa_reserve_vcc 1
		.amdhsa_float_round_mode_32 0
		.amdhsa_float_round_mode_16_64 0
		.amdhsa_float_denorm_mode_32 3
		.amdhsa_float_denorm_mode_16_64 3
		.amdhsa_dx10_clamp 1
		.amdhsa_ieee_mode 1
		.amdhsa_fp16_overflow 0
		.amdhsa_tg_split 0
		.amdhsa_exception_fp_ieee_invalid_op 0
		.amdhsa_exception_fp_denorm_src 0
		.amdhsa_exception_fp_ieee_div_zero 0
		.amdhsa_exception_fp_ieee_overflow 0
		.amdhsa_exception_fp_ieee_underflow 0
		.amdhsa_exception_fp_ieee_inexact 0
		.amdhsa_exception_int_div_zero 0
	.end_amdhsa_kernel
	.section	.text._ZN12_GLOBAL__N_141elementwise_kernel_with_index_grid_strideIiZZZN2at6native15arange_cuda_outERKN3c106ScalarES6_S6_RNS1_6TensorEENKUlvE_clEvENKUlvE1_clEvEUllE_EEvT_T0_PN15function_traitsISD_E11result_typeE,"axG",@progbits,_ZN12_GLOBAL__N_141elementwise_kernel_with_index_grid_strideIiZZZN2at6native15arange_cuda_outERKN3c106ScalarES6_S6_RNS1_6TensorEENKUlvE_clEvENKUlvE1_clEvEUllE_EEvT_T0_PN15function_traitsISD_E11result_typeE,comdat
.Lfunc_end66:
	.size	_ZN12_GLOBAL__N_141elementwise_kernel_with_index_grid_strideIiZZZN2at6native15arange_cuda_outERKN3c106ScalarES6_S6_RNS1_6TensorEENKUlvE_clEvENKUlvE1_clEvEUllE_EEvT_T0_PN15function_traitsISD_E11result_typeE, .Lfunc_end66-_ZN12_GLOBAL__N_141elementwise_kernel_with_index_grid_strideIiZZZN2at6native15arange_cuda_outERKN3c106ScalarES6_S6_RNS1_6TensorEENKUlvE_clEvENKUlvE1_clEvEUllE_EEvT_T0_PN15function_traitsISD_E11result_typeE
                                        ; -- End function
	.set _ZN12_GLOBAL__N_141elementwise_kernel_with_index_grid_strideIiZZZN2at6native15arange_cuda_outERKN3c106ScalarES6_S6_RNS1_6TensorEENKUlvE_clEvENKUlvE1_clEvEUllE_EEvT_T0_PN15function_traitsISD_E11result_typeE.num_vgpr, 12
	.set _ZN12_GLOBAL__N_141elementwise_kernel_with_index_grid_strideIiZZZN2at6native15arange_cuda_outERKN3c106ScalarES6_S6_RNS1_6TensorEENKUlvE_clEvENKUlvE1_clEvEUllE_EEvT_T0_PN15function_traitsISD_E11result_typeE.num_agpr, 0
	.set _ZN12_GLOBAL__N_141elementwise_kernel_with_index_grid_strideIiZZZN2at6native15arange_cuda_outERKN3c106ScalarES6_S6_RNS1_6TensorEENKUlvE_clEvENKUlvE1_clEvEUllE_EEvT_T0_PN15function_traitsISD_E11result_typeE.numbered_sgpr, 16
	.set _ZN12_GLOBAL__N_141elementwise_kernel_with_index_grid_strideIiZZZN2at6native15arange_cuda_outERKN3c106ScalarES6_S6_RNS1_6TensorEENKUlvE_clEvENKUlvE1_clEvEUllE_EEvT_T0_PN15function_traitsISD_E11result_typeE.num_named_barrier, 0
	.set _ZN12_GLOBAL__N_141elementwise_kernel_with_index_grid_strideIiZZZN2at6native15arange_cuda_outERKN3c106ScalarES6_S6_RNS1_6TensorEENKUlvE_clEvENKUlvE1_clEvEUllE_EEvT_T0_PN15function_traitsISD_E11result_typeE.private_seg_size, 0
	.set _ZN12_GLOBAL__N_141elementwise_kernel_with_index_grid_strideIiZZZN2at6native15arange_cuda_outERKN3c106ScalarES6_S6_RNS1_6TensorEENKUlvE_clEvENKUlvE1_clEvEUllE_EEvT_T0_PN15function_traitsISD_E11result_typeE.uses_vcc, 1
	.set _ZN12_GLOBAL__N_141elementwise_kernel_with_index_grid_strideIiZZZN2at6native15arange_cuda_outERKN3c106ScalarES6_S6_RNS1_6TensorEENKUlvE_clEvENKUlvE1_clEvEUllE_EEvT_T0_PN15function_traitsISD_E11result_typeE.uses_flat_scratch, 0
	.set _ZN12_GLOBAL__N_141elementwise_kernel_with_index_grid_strideIiZZZN2at6native15arange_cuda_outERKN3c106ScalarES6_S6_RNS1_6TensorEENKUlvE_clEvENKUlvE1_clEvEUllE_EEvT_T0_PN15function_traitsISD_E11result_typeE.has_dyn_sized_stack, 0
	.set _ZN12_GLOBAL__N_141elementwise_kernel_with_index_grid_strideIiZZZN2at6native15arange_cuda_outERKN3c106ScalarES6_S6_RNS1_6TensorEENKUlvE_clEvENKUlvE1_clEvEUllE_EEvT_T0_PN15function_traitsISD_E11result_typeE.has_recursion, 0
	.set _ZN12_GLOBAL__N_141elementwise_kernel_with_index_grid_strideIiZZZN2at6native15arange_cuda_outERKN3c106ScalarES6_S6_RNS1_6TensorEENKUlvE_clEvENKUlvE1_clEvEUllE_EEvT_T0_PN15function_traitsISD_E11result_typeE.has_indirect_call, 0
	.section	.AMDGPU.csdata,"",@progbits
; Kernel info:
; codeLenInByte = 528
; TotalNumSgprs: 22
; NumVgprs: 12
; NumAgprs: 0
; TotalNumVgprs: 12
; ScratchSize: 0
; MemoryBound: 0
; FloatMode: 240
; IeeeMode: 1
; LDSByteSize: 0 bytes/workgroup (compile time only)
; SGPRBlocks: 2
; VGPRBlocks: 1
; NumSGPRsForWavesPerEU: 22
; NumVGPRsForWavesPerEU: 12
; AccumOffset: 12
; Occupancy: 8
; WaveLimiterHint : 0
; COMPUTE_PGM_RSRC2:SCRATCH_EN: 0
; COMPUTE_PGM_RSRC2:USER_SGPR: 2
; COMPUTE_PGM_RSRC2:TRAP_HANDLER: 0
; COMPUTE_PGM_RSRC2:TGID_X_EN: 1
; COMPUTE_PGM_RSRC2:TGID_Y_EN: 0
; COMPUTE_PGM_RSRC2:TGID_Z_EN: 0
; COMPUTE_PGM_RSRC2:TIDIG_COMP_CNT: 0
; COMPUTE_PGM_RSRC3_GFX90A:ACCUM_OFFSET: 2
; COMPUTE_PGM_RSRC3_GFX90A:TG_SPLIT: 0
	.section	.text._ZN12_GLOBAL__N_141elementwise_kernel_with_index_grid_strideIlZZZN2at6native15arange_cuda_outERKN3c106ScalarES6_S6_RNS1_6TensorEENKUlvE_clEvENKUlvE1_clEvEUllE_EEvT_T0_PN15function_traitsISD_E11result_typeE,"axG",@progbits,_ZN12_GLOBAL__N_141elementwise_kernel_with_index_grid_strideIlZZZN2at6native15arange_cuda_outERKN3c106ScalarES6_S6_RNS1_6TensorEENKUlvE_clEvENKUlvE1_clEvEUllE_EEvT_T0_PN15function_traitsISD_E11result_typeE,comdat
	.globl	_ZN12_GLOBAL__N_141elementwise_kernel_with_index_grid_strideIlZZZN2at6native15arange_cuda_outERKN3c106ScalarES6_S6_RNS1_6TensorEENKUlvE_clEvENKUlvE1_clEvEUllE_EEvT_T0_PN15function_traitsISD_E11result_typeE ; -- Begin function _ZN12_GLOBAL__N_141elementwise_kernel_with_index_grid_strideIlZZZN2at6native15arange_cuda_outERKN3c106ScalarES6_S6_RNS1_6TensorEENKUlvE_clEvENKUlvE1_clEvEUllE_EEvT_T0_PN15function_traitsISD_E11result_typeE
	.p2align	8
	.type	_ZN12_GLOBAL__N_141elementwise_kernel_with_index_grid_strideIlZZZN2at6native15arange_cuda_outERKN3c106ScalarES6_S6_RNS1_6TensorEENKUlvE_clEvENKUlvE1_clEvEUllE_EEvT_T0_PN15function_traitsISD_E11result_typeE,@function
_ZN12_GLOBAL__N_141elementwise_kernel_with_index_grid_strideIlZZZN2at6native15arange_cuda_outERKN3c106ScalarES6_S6_RNS1_6TensorEENKUlvE_clEvENKUlvE1_clEvEUllE_EEvT_T0_PN15function_traitsISD_E11result_typeE: ; @_ZN12_GLOBAL__N_141elementwise_kernel_with_index_grid_strideIlZZZN2at6native15arange_cuda_outERKN3c106ScalarES6_S6_RNS1_6TensorEENKUlvE_clEvENKUlvE1_clEvEUllE_EEvT_T0_PN15function_traitsISD_E11result_typeE
; %bb.0:
	s_load_dword s3, s[0:1], 0x2c
	s_load_dwordx8 s[4:11], s[0:1], 0x0
	s_add_u32 s0, s0, 32
	s_addc_u32 s1, s1, 0
	v_mov_b32_e32 v1, 0
	s_waitcnt lgkmcnt(0)
	s_and_b32 s7, s3, 0xffff
	v_mov_b32_e32 v2, s2
	v_mad_u64_u32 v[2:3], s[12:13], s7, v2, v[0:1]
	v_cmp_gt_i64_e32 vcc, s[4:5], v[2:3]
	s_and_saveexec_b64 s[12:13], vcc
	s_cbranch_execz .LBB67_14
; %bb.1:
	s_load_dword s9, s[0:1], 0x0
	v_mov_b32_e32 v4, s7
	s_mov_b32 s3, 0
	v_mov_b32_e32 v5, s3
	s_waitcnt lgkmcnt(0)
	s_add_u32 s0, s2, s9
	s_addc_u32 s1, 0, 0
	s_mul_i32 s2, s1, s7
	v_mad_u64_u32 v[6:7], s[0:1], s0, v4, v[0:1]
	v_add_u32_e32 v7, s2, v7
	v_cmp_gt_i64_e32 vcc, s[4:5], v[6:7]
	v_mov_b32_e32 v4, s4
	v_mov_b32_e32 v0, s5
	v_cndmask_b32_e32 v8, v6, v4, vcc
	v_cndmask_b32_e64 v4, 0, 1, vcc
	v_cndmask_b32_e32 v0, v7, v0, vcc
	v_lshl_add_u64 v[6:7], v[6:7], 0, v[4:5]
	v_sub_co_u32_e32 v6, vcc, v8, v6
	s_mul_hi_u32 s13, s7, s9
	s_nop 0
	v_subb_co_u32_e32 v7, vcc, v0, v7, vcc
	v_or_b32_e32 v9, s13, v7
	v_mov_b32_e32 v8, v1
	s_mul_i32 s12, s7, s9
	v_cmp_ne_u64_e32 vcc, 0, v[8:9]
                                        ; implicit-def: $vgpr0_vgpr1
	s_and_saveexec_b64 s[0:1], vcc
	s_xor_b64 s[2:3], exec, s[0:1]
	s_cbranch_execz .LBB67_3
; %bb.2:
	v_cvt_f32_u32_e32 v0, s12
	v_cvt_f32_u32_e32 v1, s13
	s_sub_u32 s14, 0, s12
	s_subb_u32 s15, 0, s13
	v_mov_b32_e32 v9, 0
	v_fmamk_f32 v0, v1, 0x4f800000, v0
	v_rcp_f32_e32 v0, v0
	s_nop 0
	v_mul_f32_e32 v0, 0x5f7ffffc, v0
	v_mul_f32_e32 v1, 0x2f800000, v0
	v_trunc_f32_e32 v1, v1
	v_fmamk_f32 v0, v1, 0xcf800000, v0
	v_cvt_u32_f32_e32 v1, v1
	v_cvt_u32_f32_e32 v0, v0
	v_readfirstlane_b32 s16, v1
	v_readfirstlane_b32 s0, v0
	s_mul_i32 s1, s14, s16
	s_mul_hi_u32 s18, s14, s0
	s_mul_i32 s17, s15, s0
	s_add_i32 s1, s18, s1
	s_mul_i32 s19, s14, s0
	s_add_i32 s1, s1, s17
	s_mul_i32 s18, s0, s1
	s_mul_hi_u32 s20, s0, s19
	s_mul_hi_u32 s17, s0, s1
	s_add_u32 s18, s20, s18
	s_addc_u32 s17, 0, s17
	s_mul_hi_u32 s21, s16, s19
	s_mul_i32 s19, s16, s19
	s_add_u32 s18, s18, s19
	s_mul_hi_u32 s20, s16, s1
	s_addc_u32 s17, s17, s21
	s_addc_u32 s18, s20, 0
	s_mul_i32 s1, s16, s1
	s_add_u32 s1, s17, s1
	s_addc_u32 s17, 0, s18
	s_add_u32 s18, s0, s1
	s_cselect_b64 s[0:1], -1, 0
	s_cmp_lg_u64 s[0:1], 0
	s_addc_u32 s16, s16, s17
	s_mul_i32 s0, s14, s16
	s_mul_hi_u32 s1, s14, s18
	s_add_i32 s0, s1, s0
	s_mul_i32 s15, s15, s18
	s_add_i32 s0, s0, s15
	s_mul_i32 s14, s14, s18
	s_mul_hi_u32 s15, s16, s14
	s_mul_i32 s17, s16, s14
	s_mul_i32 s20, s18, s0
	s_mul_hi_u32 s14, s18, s14
	s_mul_hi_u32 s19, s18, s0
	s_add_u32 s14, s14, s20
	s_addc_u32 s19, 0, s19
	s_add_u32 s14, s14, s17
	s_mul_hi_u32 s1, s16, s0
	s_addc_u32 s14, s19, s15
	s_addc_u32 s1, s1, 0
	s_mul_i32 s0, s16, s0
	s_add_u32 s0, s14, s0
	s_addc_u32 s14, 0, s1
	s_add_u32 s15, s18, s0
	s_cselect_b64 s[0:1], -1, 0
	s_cmp_lg_u64 s[0:1], 0
	s_addc_u32 s14, s16, s14
	v_mad_u64_u32 v[0:1], s[0:1], v6, s14, 0
	v_mul_hi_u32 v8, v6, s15
	v_lshl_add_u64 v[0:1], v[8:9], 0, v[0:1]
	v_mad_u64_u32 v[12:13], s[0:1], v7, s15, 0
	v_add_co_u32_e32 v0, vcc, v0, v12
	v_mad_u64_u32 v[10:11], s[0:1], v7, s14, 0
	s_nop 0
	v_addc_co_u32_e32 v8, vcc, v1, v13, vcc
	s_nop 1
	v_addc_co_u32_e32 v11, vcc, 0, v11, vcc
	v_lshl_add_u64 v[0:1], v[8:9], 0, v[10:11]
	v_mul_lo_u32 v10, s13, v0
	v_mul_lo_u32 v11, s12, v1
	v_mad_u64_u32 v[8:9], s[0:1], s12, v0, 0
	v_add3_u32 v12, v9, v11, v10
	v_sub_u32_e32 v9, v7, v12
	v_mov_b32_e32 v10, s13
	v_sub_co_u32_e32 v6, vcc, v6, v8
	s_nop 1
	v_subb_co_u32_e64 v8, s[0:1], v9, v10, vcc
	v_subrev_co_u32_e64 v9, s[0:1], s12, v6
	v_subb_co_u32_e32 v7, vcc, v7, v12, vcc
	s_nop 0
	v_subbrev_co_u32_e64 v8, s[0:1], 0, v8, s[0:1]
	v_cmp_le_u32_e64 s[0:1], s13, v8
	v_cmp_le_u32_e32 vcc, s13, v7
	s_nop 0
	v_cndmask_b32_e64 v10, 0, -1, s[0:1]
	v_cmp_le_u32_e64 s[0:1], s12, v9
	s_nop 1
	v_cndmask_b32_e64 v9, 0, -1, s[0:1]
	v_cmp_eq_u32_e64 s[0:1], s13, v8
	s_nop 1
	v_cndmask_b32_e64 v13, v10, v9, s[0:1]
	v_lshl_add_u64 v[8:9], v[0:1], 0, 2
	v_lshl_add_u64 v[10:11], v[0:1], 0, 1
	v_cmp_ne_u32_e64 s[0:1], 0, v13
	s_nop 1
	v_cndmask_b32_e64 v9, v11, v9, s[0:1]
	v_cndmask_b32_e64 v11, 0, -1, vcc
	v_cmp_le_u32_e32 vcc, s12, v6
	s_nop 1
	v_cndmask_b32_e64 v6, 0, -1, vcc
	v_cmp_eq_u32_e32 vcc, s13, v7
	s_nop 1
	v_cndmask_b32_e32 v6, v11, v6, vcc
	v_cmp_ne_u32_e32 vcc, 0, v6
	v_cndmask_b32_e64 v6, v10, v8, s[0:1]
	s_nop 0
	v_cndmask_b32_e32 v1, v1, v9, vcc
	v_cndmask_b32_e32 v0, v0, v6, vcc
                                        ; implicit-def: $vgpr6
.LBB67_3:
	s_andn2_saveexec_b64 s[0:1], s[2:3]
	s_cbranch_execz .LBB67_5
; %bb.4:
	v_cvt_f32_u32_e32 v0, s12
	s_sub_i32 s2, 0, s12
	v_rcp_iflag_f32_e32 v0, v0
	s_nop 0
	v_mul_f32_e32 v0, 0x4f7ffffe, v0
	v_cvt_u32_f32_e32 v0, v0
	v_mul_lo_u32 v1, s2, v0
	v_mul_hi_u32 v1, v0, v1
	v_add_u32_e32 v0, v0, v1
	v_mul_hi_u32 v0, v6, v0
	v_mul_lo_u32 v1, v0, s12
	v_sub_u32_e32 v1, v6, v1
	v_add_u32_e32 v7, 1, v0
	v_subrev_u32_e32 v6, s12, v1
	v_cmp_le_u32_e32 vcc, s12, v1
	s_nop 1
	v_cndmask_b32_e32 v1, v1, v6, vcc
	v_cndmask_b32_e32 v0, v0, v7, vcc
	v_add_u32_e32 v6, 1, v0
	v_cmp_le_u32_e32 vcc, s12, v1
	v_mov_b32_e32 v1, 0
	s_nop 0
	v_cndmask_b32_e32 v0, v0, v6, vcc
.LBB67_5:
	s_or_b64 exec, exec, s[0:1]
	v_lshl_add_u64 v[0:1], v[0:1], 0, v[4:5]
	v_lshl_add_u64 v[0:1], v[0:1], 0, 1
	v_cmp_lt_u64_e32 vcc, 1, v[0:1]
	s_mov_b64 s[2:3], 0
                                        ; implicit-def: $vgpr4_vgpr5
	s_and_saveexec_b64 s[0:1], vcc
	s_xor_b64 s[0:1], exec, s[0:1]
	s_cbranch_execnz .LBB67_8
; %bb.6:
	s_andn2_saveexec_b64 s[0:1], s[0:1]
	s_cbranch_execnz .LBB67_11
.LBB67_7:
	s_or_b64 exec, exec, s[0:1]
	s_and_b64 exec, exec, s[2:3]
	s_cbranch_execnz .LBB67_12
	s_branch .LBB67_14
.LBB67_8:
	v_lshl_add_u64 v[4:5], v[2:3], 0, s[12:13]
	v_and_b32_e32 v8, -2, v0
	v_mov_b32_e32 v9, v1
	s_lshl_b64 s[14:15], s[12:13], 1
	v_mov_b64_e32 v[6:7], v[4:5]
	s_mov_b32 s22, s8
	s_mov_b32 s23, s8
	;; [unrolled: 1-line block ×6, first 2 shown]
	s_lshl_b64 s[2:3], s[12:13], 2
	v_lshl_add_u64 v[10:11], v[2:3], 2, s[10:11]
	s_lshl_b64 s[20:21], s[12:13], 3
	s_mov_b64 s[18:19], 0
	v_mov_b64_e32 v[12:13], v[8:9]
	v_mov_b64_e32 v[4:5], v[2:3]
.LBB67_9:                               ; =>This Inner Loop Header: Depth=1
	v_mul_lo_u32 v16, v4, s22
	v_lshl_add_u64 v[12:13], v[12:13], 0, -2
	v_mul_lo_u32 v17, v6, s23
	v_add_u32_e32 v16, s24, v16
	v_cmp_eq_u64_e32 vcc, 0, v[12:13]
	v_lshl_add_u64 v[14:15], v[10:11], 0, s[2:3]
	v_lshl_add_u64 v[6:7], v[6:7], 0, s[16:17]
	;; [unrolled: 1-line block ×3, first 2 shown]
	v_add_u32_e32 v17, s25, v17
	global_store_dword v[10:11], v16, off
	global_store_dword v[14:15], v17, off
	s_or_b64 s[18:19], vcc, s[18:19]
	v_lshl_add_u64 v[10:11], v[10:11], 0, s[20:21]
	s_andn2_b64 exec, exec, s[18:19]
	s_cbranch_execnz .LBB67_9
; %bb.10:
	s_or_b64 exec, exec, s[18:19]
	v_mad_u64_u32 v[2:3], s[14:15], v8, s12, v[2:3]
	v_mul_lo_u32 v4, v8, s13
	v_mul_lo_u32 v5, v9, s12
	v_cmp_ne_u64_e32 vcc, v[0:1], v[8:9]
	v_add3_u32 v3, v5, v3, v4
	v_mov_b64_e32 v[4:5], s[2:3]
	s_and_b64 s[2:3], vcc, exec
	s_andn2_saveexec_b64 s[0:1], s[0:1]
	s_cbranch_execz .LBB67_7
.LBB67_11:
	s_lshl_b64 s[14:15], s[12:13], 2
	v_mov_b64_e32 v[4:5], s[14:15]
	s_or_b64 s[2:3], s[2:3], exec
	s_or_b64 exec, exec, s[0:1]
	s_and_b64 exec, exec, s[2:3]
	s_cbranch_execz .LBB67_14
.LBB67_12:
	v_mul_lo_u32 v0, v2, s8
	s_mul_i32 s2, s9, s7
	v_add_u32_e32 v6, s6, v0
	s_mul_i32 s2, s2, s8
	v_lshl_add_u64 v[0:1], v[2:3], 2, s[10:11]
	s_mov_b64 s[0:1], 0
.LBB67_13:                              ; =>This Inner Loop Header: Depth=1
	v_lshl_add_u64 v[2:3], v[2:3], 0, s[12:13]
	v_cmp_le_i64_e32 vcc, s[4:5], v[2:3]
	global_store_dword v[0:1], v6, off
	v_add_u32_e32 v6, s2, v6
	s_or_b64 s[0:1], vcc, s[0:1]
	v_lshl_add_u64 v[0:1], v[0:1], 0, v[4:5]
	s_andn2_b64 exec, exec, s[0:1]
	s_cbranch_execnz .LBB67_13
.LBB67_14:
	s_endpgm
	.section	.rodata,"a",@progbits
	.p2align	6, 0x0
	.amdhsa_kernel _ZN12_GLOBAL__N_141elementwise_kernel_with_index_grid_strideIlZZZN2at6native15arange_cuda_outERKN3c106ScalarES6_S6_RNS1_6TensorEENKUlvE_clEvENKUlvE1_clEvEUllE_EEvT_T0_PN15function_traitsISD_E11result_typeE
		.amdhsa_group_segment_fixed_size 0
		.amdhsa_private_segment_fixed_size 0
		.amdhsa_kernarg_size 288
		.amdhsa_user_sgpr_count 2
		.amdhsa_user_sgpr_dispatch_ptr 0
		.amdhsa_user_sgpr_queue_ptr 0
		.amdhsa_user_sgpr_kernarg_segment_ptr 1
		.amdhsa_user_sgpr_dispatch_id 0
		.amdhsa_user_sgpr_kernarg_preload_length 0
		.amdhsa_user_sgpr_kernarg_preload_offset 0
		.amdhsa_user_sgpr_private_segment_size 0
		.amdhsa_uses_dynamic_stack 0
		.amdhsa_enable_private_segment 0
		.amdhsa_system_sgpr_workgroup_id_x 1
		.amdhsa_system_sgpr_workgroup_id_y 0
		.amdhsa_system_sgpr_workgroup_id_z 0
		.amdhsa_system_sgpr_workgroup_info 0
		.amdhsa_system_vgpr_workitem_id 0
		.amdhsa_next_free_vgpr 18
		.amdhsa_next_free_sgpr 26
		.amdhsa_accum_offset 20
		.amdhsa_reserve_vcc 1
		.amdhsa_float_round_mode_32 0
		.amdhsa_float_round_mode_16_64 0
		.amdhsa_float_denorm_mode_32 3
		.amdhsa_float_denorm_mode_16_64 3
		.amdhsa_dx10_clamp 1
		.amdhsa_ieee_mode 1
		.amdhsa_fp16_overflow 0
		.amdhsa_tg_split 0
		.amdhsa_exception_fp_ieee_invalid_op 0
		.amdhsa_exception_fp_denorm_src 0
		.amdhsa_exception_fp_ieee_div_zero 0
		.amdhsa_exception_fp_ieee_overflow 0
		.amdhsa_exception_fp_ieee_underflow 0
		.amdhsa_exception_fp_ieee_inexact 0
		.amdhsa_exception_int_div_zero 0
	.end_amdhsa_kernel
	.section	.text._ZN12_GLOBAL__N_141elementwise_kernel_with_index_grid_strideIlZZZN2at6native15arange_cuda_outERKN3c106ScalarES6_S6_RNS1_6TensorEENKUlvE_clEvENKUlvE1_clEvEUllE_EEvT_T0_PN15function_traitsISD_E11result_typeE,"axG",@progbits,_ZN12_GLOBAL__N_141elementwise_kernel_with_index_grid_strideIlZZZN2at6native15arange_cuda_outERKN3c106ScalarES6_S6_RNS1_6TensorEENKUlvE_clEvENKUlvE1_clEvEUllE_EEvT_T0_PN15function_traitsISD_E11result_typeE,comdat
.Lfunc_end67:
	.size	_ZN12_GLOBAL__N_141elementwise_kernel_with_index_grid_strideIlZZZN2at6native15arange_cuda_outERKN3c106ScalarES6_S6_RNS1_6TensorEENKUlvE_clEvENKUlvE1_clEvEUllE_EEvT_T0_PN15function_traitsISD_E11result_typeE, .Lfunc_end67-_ZN12_GLOBAL__N_141elementwise_kernel_with_index_grid_strideIlZZZN2at6native15arange_cuda_outERKN3c106ScalarES6_S6_RNS1_6TensorEENKUlvE_clEvENKUlvE1_clEvEUllE_EEvT_T0_PN15function_traitsISD_E11result_typeE
                                        ; -- End function
	.set _ZN12_GLOBAL__N_141elementwise_kernel_with_index_grid_strideIlZZZN2at6native15arange_cuda_outERKN3c106ScalarES6_S6_RNS1_6TensorEENKUlvE_clEvENKUlvE1_clEvEUllE_EEvT_T0_PN15function_traitsISD_E11result_typeE.num_vgpr, 18
	.set _ZN12_GLOBAL__N_141elementwise_kernel_with_index_grid_strideIlZZZN2at6native15arange_cuda_outERKN3c106ScalarES6_S6_RNS1_6TensorEENKUlvE_clEvENKUlvE1_clEvEUllE_EEvT_T0_PN15function_traitsISD_E11result_typeE.num_agpr, 0
	.set _ZN12_GLOBAL__N_141elementwise_kernel_with_index_grid_strideIlZZZN2at6native15arange_cuda_outERKN3c106ScalarES6_S6_RNS1_6TensorEENKUlvE_clEvENKUlvE1_clEvEUllE_EEvT_T0_PN15function_traitsISD_E11result_typeE.numbered_sgpr, 26
	.set _ZN12_GLOBAL__N_141elementwise_kernel_with_index_grid_strideIlZZZN2at6native15arange_cuda_outERKN3c106ScalarES6_S6_RNS1_6TensorEENKUlvE_clEvENKUlvE1_clEvEUllE_EEvT_T0_PN15function_traitsISD_E11result_typeE.num_named_barrier, 0
	.set _ZN12_GLOBAL__N_141elementwise_kernel_with_index_grid_strideIlZZZN2at6native15arange_cuda_outERKN3c106ScalarES6_S6_RNS1_6TensorEENKUlvE_clEvENKUlvE1_clEvEUllE_EEvT_T0_PN15function_traitsISD_E11result_typeE.private_seg_size, 0
	.set _ZN12_GLOBAL__N_141elementwise_kernel_with_index_grid_strideIlZZZN2at6native15arange_cuda_outERKN3c106ScalarES6_S6_RNS1_6TensorEENKUlvE_clEvENKUlvE1_clEvEUllE_EEvT_T0_PN15function_traitsISD_E11result_typeE.uses_vcc, 1
	.set _ZN12_GLOBAL__N_141elementwise_kernel_with_index_grid_strideIlZZZN2at6native15arange_cuda_outERKN3c106ScalarES6_S6_RNS1_6TensorEENKUlvE_clEvENKUlvE1_clEvEUllE_EEvT_T0_PN15function_traitsISD_E11result_typeE.uses_flat_scratch, 0
	.set _ZN12_GLOBAL__N_141elementwise_kernel_with_index_grid_strideIlZZZN2at6native15arange_cuda_outERKN3c106ScalarES6_S6_RNS1_6TensorEENKUlvE_clEvENKUlvE1_clEvEUllE_EEvT_T0_PN15function_traitsISD_E11result_typeE.has_dyn_sized_stack, 0
	.set _ZN12_GLOBAL__N_141elementwise_kernel_with_index_grid_strideIlZZZN2at6native15arange_cuda_outERKN3c106ScalarES6_S6_RNS1_6TensorEENKUlvE_clEvENKUlvE1_clEvEUllE_EEvT_T0_PN15function_traitsISD_E11result_typeE.has_recursion, 0
	.set _ZN12_GLOBAL__N_141elementwise_kernel_with_index_grid_strideIlZZZN2at6native15arange_cuda_outERKN3c106ScalarES6_S6_RNS1_6TensorEENKUlvE_clEvENKUlvE1_clEvEUllE_EEvT_T0_PN15function_traitsISD_E11result_typeE.has_indirect_call, 0
	.section	.AMDGPU.csdata,"",@progbits
; Kernel info:
; codeLenInByte = 1288
; TotalNumSgprs: 32
; NumVgprs: 18
; NumAgprs: 0
; TotalNumVgprs: 18
; ScratchSize: 0
; MemoryBound: 0
; FloatMode: 240
; IeeeMode: 1
; LDSByteSize: 0 bytes/workgroup (compile time only)
; SGPRBlocks: 3
; VGPRBlocks: 2
; NumSGPRsForWavesPerEU: 32
; NumVGPRsForWavesPerEU: 18
; AccumOffset: 20
; Occupancy: 8
; WaveLimiterHint : 0
; COMPUTE_PGM_RSRC2:SCRATCH_EN: 0
; COMPUTE_PGM_RSRC2:USER_SGPR: 2
; COMPUTE_PGM_RSRC2:TRAP_HANDLER: 0
; COMPUTE_PGM_RSRC2:TGID_X_EN: 1
; COMPUTE_PGM_RSRC2:TGID_Y_EN: 0
; COMPUTE_PGM_RSRC2:TGID_Z_EN: 0
; COMPUTE_PGM_RSRC2:TIDIG_COMP_CNT: 0
; COMPUTE_PGM_RSRC3_GFX90A:ACCUM_OFFSET: 4
; COMPUTE_PGM_RSRC3_GFX90A:TG_SPLIT: 0
	.section	.text._ZN12_GLOBAL__N_141elementwise_kernel_with_index_grid_strideIiZZZN2at6native15arange_cuda_outERKN3c106ScalarES6_S6_RNS1_6TensorEENKUlvE_clEvENKUlvE2_clEvEUllE_EEvT_T0_PN15function_traitsISD_E11result_typeE,"axG",@progbits,_ZN12_GLOBAL__N_141elementwise_kernel_with_index_grid_strideIiZZZN2at6native15arange_cuda_outERKN3c106ScalarES6_S6_RNS1_6TensorEENKUlvE_clEvENKUlvE2_clEvEUllE_EEvT_T0_PN15function_traitsISD_E11result_typeE,comdat
	.globl	_ZN12_GLOBAL__N_141elementwise_kernel_with_index_grid_strideIiZZZN2at6native15arange_cuda_outERKN3c106ScalarES6_S6_RNS1_6TensorEENKUlvE_clEvENKUlvE2_clEvEUllE_EEvT_T0_PN15function_traitsISD_E11result_typeE ; -- Begin function _ZN12_GLOBAL__N_141elementwise_kernel_with_index_grid_strideIiZZZN2at6native15arange_cuda_outERKN3c106ScalarES6_S6_RNS1_6TensorEENKUlvE_clEvENKUlvE2_clEvEUllE_EEvT_T0_PN15function_traitsISD_E11result_typeE
	.p2align	8
	.type	_ZN12_GLOBAL__N_141elementwise_kernel_with_index_grid_strideIiZZZN2at6native15arange_cuda_outERKN3c106ScalarES6_S6_RNS1_6TensorEENKUlvE_clEvENKUlvE2_clEvEUllE_EEvT_T0_PN15function_traitsISD_E11result_typeE,@function
_ZN12_GLOBAL__N_141elementwise_kernel_with_index_grid_strideIiZZZN2at6native15arange_cuda_outERKN3c106ScalarES6_S6_RNS1_6TensorEENKUlvE_clEvENKUlvE2_clEvEUllE_EEvT_T0_PN15function_traitsISD_E11result_typeE: ; @_ZN12_GLOBAL__N_141elementwise_kernel_with_index_grid_strideIiZZZN2at6native15arange_cuda_outERKN3c106ScalarES6_S6_RNS1_6TensorEENKUlvE_clEvENKUlvE2_clEvEUllE_EEvT_T0_PN15function_traitsISD_E11result_typeE
; %bb.0:
	s_load_dword s3, s[0:1], 0x2c
	s_load_dword s8, s[0:1], 0x0
	s_add_u32 s4, s0, 32
	s_addc_u32 s5, s1, 0
	s_waitcnt lgkmcnt(0)
	s_and_b32 s3, s3, 0xffff
	s_mul_i32 s2, s2, s3
	v_add_u32_e32 v0, s2, v0
	v_cmp_gt_i32_e32 vcc, s8, v0
	s_and_saveexec_b64 s[6:7], vcc
	s_cbranch_execz .LBB68_3
; %bb.1:
	s_load_dwordx4 s[12:15], s[0:1], 0x8
	s_load_dword s2, s[4:5], 0x0
	s_load_dwordx2 s[6:7], s[0:1], 0x18
	v_ashrrev_i32_e32 v1, 31, v0
	s_waitcnt lgkmcnt(0)
	v_mov_b32_e32 v4, s12
	v_mov_b32_e32 v5, s13
	s_mul_i32 s0, s2, s3
	s_ashr_i32 s1, s0, 31
	v_mad_u64_u32 v[4:5], s[4:5], s14, v0, v[4:5]
	s_lshl_b64 s[2:3], s[0:1], 3
	s_mul_i32 s1, s14, s1
	s_mul_hi_u32 s4, s14, s0
	v_lshl_add_u64 v[2:3], v[0:1], 3, s[6:7]
	v_mul_lo_u32 v6, s15, v0
	v_mul_lo_u32 v1, s14, v1
	s_add_i32 s1, s4, s1
	s_mul_i32 s4, s15, s0
	v_add3_u32 v5, v6, v5, v1
	s_add_i32 s5, s1, s4
	s_mul_i32 s4, s14, s0
	s_mov_b64 s[6:7], 0
.LBB68_2:                               ; =>This Inner Loop Header: Depth=1
	v_add_u32_e32 v0, s0, v0
	v_cmp_le_i32_e32 vcc, s8, v0
	global_store_dwordx2 v[2:3], v[4:5], off
	v_lshl_add_u64 v[2:3], v[2:3], 0, s[2:3]
	s_or_b64 s[6:7], vcc, s[6:7]
	v_lshl_add_u64 v[4:5], v[4:5], 0, s[4:5]
	s_andn2_b64 exec, exec, s[6:7]
	s_cbranch_execnz .LBB68_2
.LBB68_3:
	s_endpgm
	.section	.rodata,"a",@progbits
	.p2align	6, 0x0
	.amdhsa_kernel _ZN12_GLOBAL__N_141elementwise_kernel_with_index_grid_strideIiZZZN2at6native15arange_cuda_outERKN3c106ScalarES6_S6_RNS1_6TensorEENKUlvE_clEvENKUlvE2_clEvEUllE_EEvT_T0_PN15function_traitsISD_E11result_typeE
		.amdhsa_group_segment_fixed_size 0
		.amdhsa_private_segment_fixed_size 0
		.amdhsa_kernarg_size 288
		.amdhsa_user_sgpr_count 2
		.amdhsa_user_sgpr_dispatch_ptr 0
		.amdhsa_user_sgpr_queue_ptr 0
		.amdhsa_user_sgpr_kernarg_segment_ptr 1
		.amdhsa_user_sgpr_dispatch_id 0
		.amdhsa_user_sgpr_kernarg_preload_length 0
		.amdhsa_user_sgpr_kernarg_preload_offset 0
		.amdhsa_user_sgpr_private_segment_size 0
		.amdhsa_uses_dynamic_stack 0
		.amdhsa_enable_private_segment 0
		.amdhsa_system_sgpr_workgroup_id_x 1
		.amdhsa_system_sgpr_workgroup_id_y 0
		.amdhsa_system_sgpr_workgroup_id_z 0
		.amdhsa_system_sgpr_workgroup_info 0
		.amdhsa_system_vgpr_workitem_id 0
		.amdhsa_next_free_vgpr 7
		.amdhsa_next_free_sgpr 16
		.amdhsa_accum_offset 8
		.amdhsa_reserve_vcc 1
		.amdhsa_float_round_mode_32 0
		.amdhsa_float_round_mode_16_64 0
		.amdhsa_float_denorm_mode_32 3
		.amdhsa_float_denorm_mode_16_64 3
		.amdhsa_dx10_clamp 1
		.amdhsa_ieee_mode 1
		.amdhsa_fp16_overflow 0
		.amdhsa_tg_split 0
		.amdhsa_exception_fp_ieee_invalid_op 0
		.amdhsa_exception_fp_denorm_src 0
		.amdhsa_exception_fp_ieee_div_zero 0
		.amdhsa_exception_fp_ieee_overflow 0
		.amdhsa_exception_fp_ieee_underflow 0
		.amdhsa_exception_fp_ieee_inexact 0
		.amdhsa_exception_int_div_zero 0
	.end_amdhsa_kernel
	.section	.text._ZN12_GLOBAL__N_141elementwise_kernel_with_index_grid_strideIiZZZN2at6native15arange_cuda_outERKN3c106ScalarES6_S6_RNS1_6TensorEENKUlvE_clEvENKUlvE2_clEvEUllE_EEvT_T0_PN15function_traitsISD_E11result_typeE,"axG",@progbits,_ZN12_GLOBAL__N_141elementwise_kernel_with_index_grid_strideIiZZZN2at6native15arange_cuda_outERKN3c106ScalarES6_S6_RNS1_6TensorEENKUlvE_clEvENKUlvE2_clEvEUllE_EEvT_T0_PN15function_traitsISD_E11result_typeE,comdat
.Lfunc_end68:
	.size	_ZN12_GLOBAL__N_141elementwise_kernel_with_index_grid_strideIiZZZN2at6native15arange_cuda_outERKN3c106ScalarES6_S6_RNS1_6TensorEENKUlvE_clEvENKUlvE2_clEvEUllE_EEvT_T0_PN15function_traitsISD_E11result_typeE, .Lfunc_end68-_ZN12_GLOBAL__N_141elementwise_kernel_with_index_grid_strideIiZZZN2at6native15arange_cuda_outERKN3c106ScalarES6_S6_RNS1_6TensorEENKUlvE_clEvENKUlvE2_clEvEUllE_EEvT_T0_PN15function_traitsISD_E11result_typeE
                                        ; -- End function
	.set _ZN12_GLOBAL__N_141elementwise_kernel_with_index_grid_strideIiZZZN2at6native15arange_cuda_outERKN3c106ScalarES6_S6_RNS1_6TensorEENKUlvE_clEvENKUlvE2_clEvEUllE_EEvT_T0_PN15function_traitsISD_E11result_typeE.num_vgpr, 7
	.set _ZN12_GLOBAL__N_141elementwise_kernel_with_index_grid_strideIiZZZN2at6native15arange_cuda_outERKN3c106ScalarES6_S6_RNS1_6TensorEENKUlvE_clEvENKUlvE2_clEvEUllE_EEvT_T0_PN15function_traitsISD_E11result_typeE.num_agpr, 0
	.set _ZN12_GLOBAL__N_141elementwise_kernel_with_index_grid_strideIiZZZN2at6native15arange_cuda_outERKN3c106ScalarES6_S6_RNS1_6TensorEENKUlvE_clEvENKUlvE2_clEvEUllE_EEvT_T0_PN15function_traitsISD_E11result_typeE.numbered_sgpr, 16
	.set _ZN12_GLOBAL__N_141elementwise_kernel_with_index_grid_strideIiZZZN2at6native15arange_cuda_outERKN3c106ScalarES6_S6_RNS1_6TensorEENKUlvE_clEvENKUlvE2_clEvEUllE_EEvT_T0_PN15function_traitsISD_E11result_typeE.num_named_barrier, 0
	.set _ZN12_GLOBAL__N_141elementwise_kernel_with_index_grid_strideIiZZZN2at6native15arange_cuda_outERKN3c106ScalarES6_S6_RNS1_6TensorEENKUlvE_clEvENKUlvE2_clEvEUllE_EEvT_T0_PN15function_traitsISD_E11result_typeE.private_seg_size, 0
	.set _ZN12_GLOBAL__N_141elementwise_kernel_with_index_grid_strideIiZZZN2at6native15arange_cuda_outERKN3c106ScalarES6_S6_RNS1_6TensorEENKUlvE_clEvENKUlvE2_clEvEUllE_EEvT_T0_PN15function_traitsISD_E11result_typeE.uses_vcc, 1
	.set _ZN12_GLOBAL__N_141elementwise_kernel_with_index_grid_strideIiZZZN2at6native15arange_cuda_outERKN3c106ScalarES6_S6_RNS1_6TensorEENKUlvE_clEvENKUlvE2_clEvEUllE_EEvT_T0_PN15function_traitsISD_E11result_typeE.uses_flat_scratch, 0
	.set _ZN12_GLOBAL__N_141elementwise_kernel_with_index_grid_strideIiZZZN2at6native15arange_cuda_outERKN3c106ScalarES6_S6_RNS1_6TensorEENKUlvE_clEvENKUlvE2_clEvEUllE_EEvT_T0_PN15function_traitsISD_E11result_typeE.has_dyn_sized_stack, 0
	.set _ZN12_GLOBAL__N_141elementwise_kernel_with_index_grid_strideIiZZZN2at6native15arange_cuda_outERKN3c106ScalarES6_S6_RNS1_6TensorEENKUlvE_clEvENKUlvE2_clEvEUllE_EEvT_T0_PN15function_traitsISD_E11result_typeE.has_recursion, 0
	.set _ZN12_GLOBAL__N_141elementwise_kernel_with_index_grid_strideIiZZZN2at6native15arange_cuda_outERKN3c106ScalarES6_S6_RNS1_6TensorEENKUlvE_clEvENKUlvE2_clEvEUllE_EEvT_T0_PN15function_traitsISD_E11result_typeE.has_indirect_call, 0
	.section	.AMDGPU.csdata,"",@progbits
; Kernel info:
; codeLenInByte = 224
; TotalNumSgprs: 22
; NumVgprs: 7
; NumAgprs: 0
; TotalNumVgprs: 7
; ScratchSize: 0
; MemoryBound: 0
; FloatMode: 240
; IeeeMode: 1
; LDSByteSize: 0 bytes/workgroup (compile time only)
; SGPRBlocks: 2
; VGPRBlocks: 0
; NumSGPRsForWavesPerEU: 22
; NumVGPRsForWavesPerEU: 7
; AccumOffset: 8
; Occupancy: 8
; WaveLimiterHint : 0
; COMPUTE_PGM_RSRC2:SCRATCH_EN: 0
; COMPUTE_PGM_RSRC2:USER_SGPR: 2
; COMPUTE_PGM_RSRC2:TRAP_HANDLER: 0
; COMPUTE_PGM_RSRC2:TGID_X_EN: 1
; COMPUTE_PGM_RSRC2:TGID_Y_EN: 0
; COMPUTE_PGM_RSRC2:TGID_Z_EN: 0
; COMPUTE_PGM_RSRC2:TIDIG_COMP_CNT: 0
; COMPUTE_PGM_RSRC3_GFX90A:ACCUM_OFFSET: 1
; COMPUTE_PGM_RSRC3_GFX90A:TG_SPLIT: 0
	.section	.text._ZN12_GLOBAL__N_141elementwise_kernel_with_index_grid_strideIlZZZN2at6native15arange_cuda_outERKN3c106ScalarES6_S6_RNS1_6TensorEENKUlvE_clEvENKUlvE2_clEvEUllE_EEvT_T0_PN15function_traitsISD_E11result_typeE,"axG",@progbits,_ZN12_GLOBAL__N_141elementwise_kernel_with_index_grid_strideIlZZZN2at6native15arange_cuda_outERKN3c106ScalarES6_S6_RNS1_6TensorEENKUlvE_clEvENKUlvE2_clEvEUllE_EEvT_T0_PN15function_traitsISD_E11result_typeE,comdat
	.globl	_ZN12_GLOBAL__N_141elementwise_kernel_with_index_grid_strideIlZZZN2at6native15arange_cuda_outERKN3c106ScalarES6_S6_RNS1_6TensorEENKUlvE_clEvENKUlvE2_clEvEUllE_EEvT_T0_PN15function_traitsISD_E11result_typeE ; -- Begin function _ZN12_GLOBAL__N_141elementwise_kernel_with_index_grid_strideIlZZZN2at6native15arange_cuda_outERKN3c106ScalarES6_S6_RNS1_6TensorEENKUlvE_clEvENKUlvE2_clEvEUllE_EEvT_T0_PN15function_traitsISD_E11result_typeE
	.p2align	8
	.type	_ZN12_GLOBAL__N_141elementwise_kernel_with_index_grid_strideIlZZZN2at6native15arange_cuda_outERKN3c106ScalarES6_S6_RNS1_6TensorEENKUlvE_clEvENKUlvE2_clEvEUllE_EEvT_T0_PN15function_traitsISD_E11result_typeE,@function
_ZN12_GLOBAL__N_141elementwise_kernel_with_index_grid_strideIlZZZN2at6native15arange_cuda_outERKN3c106ScalarES6_S6_RNS1_6TensorEENKUlvE_clEvENKUlvE2_clEvEUllE_EEvT_T0_PN15function_traitsISD_E11result_typeE: ; @_ZN12_GLOBAL__N_141elementwise_kernel_with_index_grid_strideIlZZZN2at6native15arange_cuda_outERKN3c106ScalarES6_S6_RNS1_6TensorEENKUlvE_clEvENKUlvE2_clEvEUllE_EEvT_T0_PN15function_traitsISD_E11result_typeE
; %bb.0:
	s_load_dword s3, s[0:1], 0x2c
	s_load_dwordx8 s[4:11], s[0:1], 0x0
	s_add_u32 s0, s0, 32
	s_addc_u32 s1, s1, 0
	v_mov_b32_e32 v1, 0
	s_waitcnt lgkmcnt(0)
	s_and_b32 s3, s3, 0xffff
	v_mov_b32_e32 v2, s2
	v_mad_u64_u32 v[0:1], s[12:13], s3, v2, v[0:1]
	v_cmp_gt_i64_e32 vcc, s[4:5], v[0:1]
	s_and_saveexec_b64 s[12:13], vcc
	s_cbranch_execz .LBB69_3
; %bb.1:
	s_load_dword s0, s[0:1], 0x0
	v_mov_b32_e32 v2, s6
	v_mov_b32_e32 v3, s7
	;; [unrolled: 1-line block ×4, first 2 shown]
	s_waitcnt lgkmcnt(0)
	s_mul_hi_u32 s1, s3, s0
	s_mul_i32 s0, s3, s0
	v_mad_u64_u32 v[2:3], s[2:3], s8, v0, v[2:3]
	s_mul_i32 s2, s0, s9
	s_mul_hi_u32 s3, s0, s8
	v_mul_lo_u32 v6, s8, v1
	v_mul_lo_u32 v7, s9, v0
	s_add_i32 s2, s3, s2
	s_mul_i32 s3, s1, s8
	v_add3_u32 v3, v7, v3, v6
	s_add_i32 s3, s2, s3
	s_mul_i32 s2, s0, s8
	v_lshl_add_u64 v[4:5], v[0:1], 3, v[4:5]
	s_lshl_b64 s[6:7], s[0:1], 3
	s_mov_b64 s[8:9], 0
.LBB69_2:                               ; =>This Inner Loop Header: Depth=1
	v_lshl_add_u64 v[0:1], v[0:1], 0, s[0:1]
	v_cmp_le_i64_e32 vcc, s[4:5], v[0:1]
	global_store_dwordx2 v[4:5], v[2:3], off
	v_lshl_add_u64 v[2:3], v[2:3], 0, s[2:3]
	s_or_b64 s[8:9], vcc, s[8:9]
	v_lshl_add_u64 v[4:5], v[4:5], 0, s[6:7]
	s_andn2_b64 exec, exec, s[8:9]
	s_cbranch_execnz .LBB69_2
.LBB69_3:
	s_endpgm
	.section	.rodata,"a",@progbits
	.p2align	6, 0x0
	.amdhsa_kernel _ZN12_GLOBAL__N_141elementwise_kernel_with_index_grid_strideIlZZZN2at6native15arange_cuda_outERKN3c106ScalarES6_S6_RNS1_6TensorEENKUlvE_clEvENKUlvE2_clEvEUllE_EEvT_T0_PN15function_traitsISD_E11result_typeE
		.amdhsa_group_segment_fixed_size 0
		.amdhsa_private_segment_fixed_size 0
		.amdhsa_kernarg_size 288
		.amdhsa_user_sgpr_count 2
		.amdhsa_user_sgpr_dispatch_ptr 0
		.amdhsa_user_sgpr_queue_ptr 0
		.amdhsa_user_sgpr_kernarg_segment_ptr 1
		.amdhsa_user_sgpr_dispatch_id 0
		.amdhsa_user_sgpr_kernarg_preload_length 0
		.amdhsa_user_sgpr_kernarg_preload_offset 0
		.amdhsa_user_sgpr_private_segment_size 0
		.amdhsa_uses_dynamic_stack 0
		.amdhsa_enable_private_segment 0
		.amdhsa_system_sgpr_workgroup_id_x 1
		.amdhsa_system_sgpr_workgroup_id_y 0
		.amdhsa_system_sgpr_workgroup_id_z 0
		.amdhsa_system_sgpr_workgroup_info 0
		.amdhsa_system_vgpr_workitem_id 0
		.amdhsa_next_free_vgpr 8
		.amdhsa_next_free_sgpr 14
		.amdhsa_accum_offset 8
		.amdhsa_reserve_vcc 1
		.amdhsa_float_round_mode_32 0
		.amdhsa_float_round_mode_16_64 0
		.amdhsa_float_denorm_mode_32 3
		.amdhsa_float_denorm_mode_16_64 3
		.amdhsa_dx10_clamp 1
		.amdhsa_ieee_mode 1
		.amdhsa_fp16_overflow 0
		.amdhsa_tg_split 0
		.amdhsa_exception_fp_ieee_invalid_op 0
		.amdhsa_exception_fp_denorm_src 0
		.amdhsa_exception_fp_ieee_div_zero 0
		.amdhsa_exception_fp_ieee_overflow 0
		.amdhsa_exception_fp_ieee_underflow 0
		.amdhsa_exception_fp_ieee_inexact 0
		.amdhsa_exception_int_div_zero 0
	.end_amdhsa_kernel
	.section	.text._ZN12_GLOBAL__N_141elementwise_kernel_with_index_grid_strideIlZZZN2at6native15arange_cuda_outERKN3c106ScalarES6_S6_RNS1_6TensorEENKUlvE_clEvENKUlvE2_clEvEUllE_EEvT_T0_PN15function_traitsISD_E11result_typeE,"axG",@progbits,_ZN12_GLOBAL__N_141elementwise_kernel_with_index_grid_strideIlZZZN2at6native15arange_cuda_outERKN3c106ScalarES6_S6_RNS1_6TensorEENKUlvE_clEvENKUlvE2_clEvEUllE_EEvT_T0_PN15function_traitsISD_E11result_typeE,comdat
.Lfunc_end69:
	.size	_ZN12_GLOBAL__N_141elementwise_kernel_with_index_grid_strideIlZZZN2at6native15arange_cuda_outERKN3c106ScalarES6_S6_RNS1_6TensorEENKUlvE_clEvENKUlvE2_clEvEUllE_EEvT_T0_PN15function_traitsISD_E11result_typeE, .Lfunc_end69-_ZN12_GLOBAL__N_141elementwise_kernel_with_index_grid_strideIlZZZN2at6native15arange_cuda_outERKN3c106ScalarES6_S6_RNS1_6TensorEENKUlvE_clEvENKUlvE2_clEvEUllE_EEvT_T0_PN15function_traitsISD_E11result_typeE
                                        ; -- End function
	.set _ZN12_GLOBAL__N_141elementwise_kernel_with_index_grid_strideIlZZZN2at6native15arange_cuda_outERKN3c106ScalarES6_S6_RNS1_6TensorEENKUlvE_clEvENKUlvE2_clEvEUllE_EEvT_T0_PN15function_traitsISD_E11result_typeE.num_vgpr, 8
	.set _ZN12_GLOBAL__N_141elementwise_kernel_with_index_grid_strideIlZZZN2at6native15arange_cuda_outERKN3c106ScalarES6_S6_RNS1_6TensorEENKUlvE_clEvENKUlvE2_clEvEUllE_EEvT_T0_PN15function_traitsISD_E11result_typeE.num_agpr, 0
	.set _ZN12_GLOBAL__N_141elementwise_kernel_with_index_grid_strideIlZZZN2at6native15arange_cuda_outERKN3c106ScalarES6_S6_RNS1_6TensorEENKUlvE_clEvENKUlvE2_clEvEUllE_EEvT_T0_PN15function_traitsISD_E11result_typeE.numbered_sgpr, 14
	.set _ZN12_GLOBAL__N_141elementwise_kernel_with_index_grid_strideIlZZZN2at6native15arange_cuda_outERKN3c106ScalarES6_S6_RNS1_6TensorEENKUlvE_clEvENKUlvE2_clEvEUllE_EEvT_T0_PN15function_traitsISD_E11result_typeE.num_named_barrier, 0
	.set _ZN12_GLOBAL__N_141elementwise_kernel_with_index_grid_strideIlZZZN2at6native15arange_cuda_outERKN3c106ScalarES6_S6_RNS1_6TensorEENKUlvE_clEvENKUlvE2_clEvEUllE_EEvT_T0_PN15function_traitsISD_E11result_typeE.private_seg_size, 0
	.set _ZN12_GLOBAL__N_141elementwise_kernel_with_index_grid_strideIlZZZN2at6native15arange_cuda_outERKN3c106ScalarES6_S6_RNS1_6TensorEENKUlvE_clEvENKUlvE2_clEvEUllE_EEvT_T0_PN15function_traitsISD_E11result_typeE.uses_vcc, 1
	.set _ZN12_GLOBAL__N_141elementwise_kernel_with_index_grid_strideIlZZZN2at6native15arange_cuda_outERKN3c106ScalarES6_S6_RNS1_6TensorEENKUlvE_clEvENKUlvE2_clEvEUllE_EEvT_T0_PN15function_traitsISD_E11result_typeE.uses_flat_scratch, 0
	.set _ZN12_GLOBAL__N_141elementwise_kernel_with_index_grid_strideIlZZZN2at6native15arange_cuda_outERKN3c106ScalarES6_S6_RNS1_6TensorEENKUlvE_clEvENKUlvE2_clEvEUllE_EEvT_T0_PN15function_traitsISD_E11result_typeE.has_dyn_sized_stack, 0
	.set _ZN12_GLOBAL__N_141elementwise_kernel_with_index_grid_strideIlZZZN2at6native15arange_cuda_outERKN3c106ScalarES6_S6_RNS1_6TensorEENKUlvE_clEvENKUlvE2_clEvEUllE_EEvT_T0_PN15function_traitsISD_E11result_typeE.has_recursion, 0
	.set _ZN12_GLOBAL__N_141elementwise_kernel_with_index_grid_strideIlZZZN2at6native15arange_cuda_outERKN3c106ScalarES6_S6_RNS1_6TensorEENKUlvE_clEvENKUlvE2_clEvEUllE_EEvT_T0_PN15function_traitsISD_E11result_typeE.has_indirect_call, 0
	.section	.AMDGPU.csdata,"",@progbits
; Kernel info:
; codeLenInByte = 224
; TotalNumSgprs: 20
; NumVgprs: 8
; NumAgprs: 0
; TotalNumVgprs: 8
; ScratchSize: 0
; MemoryBound: 0
; FloatMode: 240
; IeeeMode: 1
; LDSByteSize: 0 bytes/workgroup (compile time only)
; SGPRBlocks: 2
; VGPRBlocks: 0
; NumSGPRsForWavesPerEU: 20
; NumVGPRsForWavesPerEU: 8
; AccumOffset: 8
; Occupancy: 8
; WaveLimiterHint : 0
; COMPUTE_PGM_RSRC2:SCRATCH_EN: 0
; COMPUTE_PGM_RSRC2:USER_SGPR: 2
; COMPUTE_PGM_RSRC2:TRAP_HANDLER: 0
; COMPUTE_PGM_RSRC2:TGID_X_EN: 1
; COMPUTE_PGM_RSRC2:TGID_Y_EN: 0
; COMPUTE_PGM_RSRC2:TGID_Z_EN: 0
; COMPUTE_PGM_RSRC2:TIDIG_COMP_CNT: 0
; COMPUTE_PGM_RSRC3_GFX90A:ACCUM_OFFSET: 1
; COMPUTE_PGM_RSRC3_GFX90A:TG_SPLIT: 0
	.section	.text._ZN12_GLOBAL__N_141elementwise_kernel_with_index_grid_strideIiZZZN2at6native15arange_cuda_outERKN3c106ScalarES6_S6_RNS1_6TensorEENKUlvE_clEvENKUlvE3_clEvEUllE_EEvT_T0_PN15function_traitsISD_E11result_typeE,"axG",@progbits,_ZN12_GLOBAL__N_141elementwise_kernel_with_index_grid_strideIiZZZN2at6native15arange_cuda_outERKN3c106ScalarES6_S6_RNS1_6TensorEENKUlvE_clEvENKUlvE3_clEvEUllE_EEvT_T0_PN15function_traitsISD_E11result_typeE,comdat
	.globl	_ZN12_GLOBAL__N_141elementwise_kernel_with_index_grid_strideIiZZZN2at6native15arange_cuda_outERKN3c106ScalarES6_S6_RNS1_6TensorEENKUlvE_clEvENKUlvE3_clEvEUllE_EEvT_T0_PN15function_traitsISD_E11result_typeE ; -- Begin function _ZN12_GLOBAL__N_141elementwise_kernel_with_index_grid_strideIiZZZN2at6native15arange_cuda_outERKN3c106ScalarES6_S6_RNS1_6TensorEENKUlvE_clEvENKUlvE3_clEvEUllE_EEvT_T0_PN15function_traitsISD_E11result_typeE
	.p2align	8
	.type	_ZN12_GLOBAL__N_141elementwise_kernel_with_index_grid_strideIiZZZN2at6native15arange_cuda_outERKN3c106ScalarES6_S6_RNS1_6TensorEENKUlvE_clEvENKUlvE3_clEvEUllE_EEvT_T0_PN15function_traitsISD_E11result_typeE,@function
_ZN12_GLOBAL__N_141elementwise_kernel_with_index_grid_strideIiZZZN2at6native15arange_cuda_outERKN3c106ScalarES6_S6_RNS1_6TensorEENKUlvE_clEvENKUlvE3_clEvEUllE_EEvT_T0_PN15function_traitsISD_E11result_typeE: ; @_ZN12_GLOBAL__N_141elementwise_kernel_with_index_grid_strideIiZZZN2at6native15arange_cuda_outERKN3c106ScalarES6_S6_RNS1_6TensorEENKUlvE_clEvENKUlvE3_clEvEUllE_EEvT_T0_PN15function_traitsISD_E11result_typeE
; %bb.0:
	s_load_dword s3, s[0:1], 0x2c
	s_load_dword s12, s[0:1], 0x0
	s_add_u32 s8, s0, 32
	s_addc_u32 s9, s1, 0
	s_waitcnt lgkmcnt(0)
	s_and_b32 s3, s3, 0xffff
	s_mul_i32 s4, s2, s3
	v_add_u32_e32 v2, s4, v0
	v_cmp_gt_i32_e32 vcc, s12, v2
	s_and_saveexec_b64 s[4:5], vcc
	s_cbranch_execz .LBB70_8
; %bb.1:
	s_load_dword s13, s[8:9], 0x0
	s_load_dwordx4 s[4:7], s[0:1], 0x8
	s_load_dwordx2 s[10:11], s[0:1], 0x18
	s_waitcnt lgkmcnt(0)
	s_mul_i32 s8, s13, s3
	v_cvt_f32_u32_e32 v1, s8
	s_add_i32 s0, s2, s13
	s_mul_i32 s0, s0, s3
	s_sub_i32 s2, 0, s8
	v_rcp_iflag_f32_e32 v1, v1
	v_add_u32_e32 v3, s0, v0
	v_mov_b32_e32 v4, s0
	v_max_i32_e32 v5, s12, v3
	v_mul_f32_e32 v1, 0x4f7ffffe, v1
	v_cvt_u32_f32_e32 v1, v1
	v_cmp_gt_i32_e32 vcc, s12, v3
	v_mul_lo_u32 v3, s2, v1
	s_nop 0
	v_addc_co_u32_e64 v0, s[0:1], v0, v4, vcc
	v_mul_hi_u32 v3, v1, v3
	v_sub_u32_e32 v0, v5, v0
	v_add_u32_e32 v1, v1, v3
	v_mul_hi_u32 v1, v0, v1
	v_mul_lo_u32 v3, v1, s8
	v_sub_u32_e32 v0, v0, v3
	v_add_u32_e32 v4, 1, v1
	v_cmp_le_u32_e64 s[0:1], s8, v0
	v_subrev_u32_e32 v3, s8, v0
	s_mov_b64 s[2:3], -1
	v_cndmask_b32_e64 v1, v1, v4, s[0:1]
	v_cndmask_b32_e64 v0, v0, v3, s[0:1]
	v_add_u32_e32 v3, 1, v1
	v_cmp_le_u32_e64 s[0:1], s8, v0
	s_nop 1
	v_cndmask_b32_e64 v0, v1, v3, s[0:1]
	v_addc_co_u32_e32 v0, vcc, 1, v0, vcc
	v_cmp_lt_u32_e32 vcc, 3, v0
	s_and_saveexec_b64 s[0:1], vcc
	s_cbranch_execz .LBB70_5
; %bb.2:
	v_add_u32_e32 v3, s8, v2
	v_mad_u64_u32 v[6:7], s[2:3], s8, 3, v[2:3]
	v_lshl_add_u32 v4, s8, 1, v2
	v_mov_b32_e32 v5, v6
	v_and_b32_e32 v1, -4, v0
	s_lshl_b32 s20, s8, 2
	v_mov_b64_e32 v[6:7], v[4:5]
	s_mov_b32 s9, s6
	s_mov_b32 s13, s6
	s_mov_b32 s14, s6
	s_mov_b32 s15, s6
	s_mov_b32 s16, s4
	s_mov_b32 s17, s4
	s_mov_b32 s18, s4
	s_mov_b32 s19, s4
	s_mov_b32 s21, s20
	s_mov_b32 s22, s20
	s_mov_b32 s23, s20
	s_mov_b64 s[2:3], 0
	v_mov_b32_e32 v8, v1
	v_mov_b64_e32 v[4:5], v[2:3]
.LBB70_3:                               ; =>This Inner Loop Header: Depth=1
	v_add_u32_e32 v8, -4, v8
	v_ashrrev_i32_e32 v11, 31, v7
	v_mov_b32_e32 v10, v7
	v_ashrrev_i32_e32 v17, 31, v4
	v_mov_b32_e32 v16, v4
	v_mul_lo_u32 v3, s9, v4
	v_mul_lo_u32 v19, s15, v7
	v_cmp_eq_u32_e32 vcc, 0, v8
	v_ashrrev_i32_e32 v13, 31, v6
	v_mov_b32_e32 v12, v6
	v_ashrrev_i32_e32 v15, 31, v5
	v_mov_b32_e32 v14, v5
	v_mul_lo_u32 v9, s13, v5
	v_mul_lo_u32 v18, s14, v6
	v_add_u32_e32 v7, s23, v7
	v_add_u32_e32 v6, s22, v6
	;; [unrolled: 1-line block ×6, first 2 shown]
	v_lshl_add_u64 v[16:17], v[16:17], 1, s[10:11]
	v_lshl_add_u64 v[10:11], v[10:11], 1, s[10:11]
	s_or_b64 s[2:3], vcc, s[2:3]
	v_add_u32_e32 v18, s18, v18
	v_add_u32_e32 v9, s17, v9
	v_lshl_add_u64 v[14:15], v[14:15], 1, s[10:11]
	v_lshl_add_u64 v[12:13], v[12:13], 1, s[10:11]
	global_store_short v[16:17], v3, off
	global_store_short v[14:15], v9, off
	;; [unrolled: 1-line block ×4, first 2 shown]
	s_andn2_b64 exec, exec, s[2:3]
	s_cbranch_execnz .LBB70_3
; %bb.4:
	s_or_b64 exec, exec, s[2:3]
	v_mad_u64_u32 v[2:3], s[2:3], v1, s8, v[2:3]
	v_cmp_ne_u32_e32 vcc, v0, v1
	s_orn2_b64 s[2:3], vcc, exec
.LBB70_5:
	s_or_b64 exec, exec, s[0:1]
	s_and_b64 exec, exec, s[2:3]
	s_cbranch_execz .LBB70_8
; %bb.6:
	v_mov_b64_e32 v[4:5], s[4:5]
	s_ashr_i32 s9, s8, 31
	v_mad_u64_u32 v[4:5], s[2:3], s6, v2, v[4:5]
	v_ashrrev_i32_e32 v3, 31, v2
	s_mul_hi_u32 s2, s6, s8
	s_mul_i32 s3, s6, s9
	v_lshl_add_u64 v[0:1], v[2:3], 1, s[10:11]
	v_mul_lo_u32 v6, s7, v2
	v_mul_lo_u32 v3, s6, v3
	s_add_i32 s2, s2, s3
	s_mul_i32 s3, s7, s8
	s_lshl_b64 s[0:1], s[8:9], 1
	v_add3_u32 v5, v6, v5, v3
	s_add_i32 s3, s2, s3
	s_mul_i32 s2, s6, s8
	s_mov_b64 s[4:5], 0
.LBB70_7:                               ; =>This Inner Loop Header: Depth=1
	v_add_u32_e32 v2, s8, v2
	v_cmp_le_i32_e32 vcc, s12, v2
	global_store_short v[0:1], v4, off
	v_lshl_add_u64 v[0:1], v[0:1], 0, s[0:1]
	s_or_b64 s[4:5], vcc, s[4:5]
	v_lshl_add_u64 v[4:5], v[4:5], 0, s[2:3]
	s_andn2_b64 exec, exec, s[4:5]
	s_cbranch_execnz .LBB70_7
.LBB70_8:
	s_endpgm
	.section	.rodata,"a",@progbits
	.p2align	6, 0x0
	.amdhsa_kernel _ZN12_GLOBAL__N_141elementwise_kernel_with_index_grid_strideIiZZZN2at6native15arange_cuda_outERKN3c106ScalarES6_S6_RNS1_6TensorEENKUlvE_clEvENKUlvE3_clEvEUllE_EEvT_T0_PN15function_traitsISD_E11result_typeE
		.amdhsa_group_segment_fixed_size 0
		.amdhsa_private_segment_fixed_size 0
		.amdhsa_kernarg_size 288
		.amdhsa_user_sgpr_count 2
		.amdhsa_user_sgpr_dispatch_ptr 0
		.amdhsa_user_sgpr_queue_ptr 0
		.amdhsa_user_sgpr_kernarg_segment_ptr 1
		.amdhsa_user_sgpr_dispatch_id 0
		.amdhsa_user_sgpr_kernarg_preload_length 0
		.amdhsa_user_sgpr_kernarg_preload_offset 0
		.amdhsa_user_sgpr_private_segment_size 0
		.amdhsa_uses_dynamic_stack 0
		.amdhsa_enable_private_segment 0
		.amdhsa_system_sgpr_workgroup_id_x 1
		.amdhsa_system_sgpr_workgroup_id_y 0
		.amdhsa_system_sgpr_workgroup_id_z 0
		.amdhsa_system_sgpr_workgroup_info 0
		.amdhsa_system_vgpr_workitem_id 0
		.amdhsa_next_free_vgpr 20
		.amdhsa_next_free_sgpr 24
		.amdhsa_accum_offset 20
		.amdhsa_reserve_vcc 1
		.amdhsa_float_round_mode_32 0
		.amdhsa_float_round_mode_16_64 0
		.amdhsa_float_denorm_mode_32 3
		.amdhsa_float_denorm_mode_16_64 3
		.amdhsa_dx10_clamp 1
		.amdhsa_ieee_mode 1
		.amdhsa_fp16_overflow 0
		.amdhsa_tg_split 0
		.amdhsa_exception_fp_ieee_invalid_op 0
		.amdhsa_exception_fp_denorm_src 0
		.amdhsa_exception_fp_ieee_div_zero 0
		.amdhsa_exception_fp_ieee_overflow 0
		.amdhsa_exception_fp_ieee_underflow 0
		.amdhsa_exception_fp_ieee_inexact 0
		.amdhsa_exception_int_div_zero 0
	.end_amdhsa_kernel
	.section	.text._ZN12_GLOBAL__N_141elementwise_kernel_with_index_grid_strideIiZZZN2at6native15arange_cuda_outERKN3c106ScalarES6_S6_RNS1_6TensorEENKUlvE_clEvENKUlvE3_clEvEUllE_EEvT_T0_PN15function_traitsISD_E11result_typeE,"axG",@progbits,_ZN12_GLOBAL__N_141elementwise_kernel_with_index_grid_strideIiZZZN2at6native15arange_cuda_outERKN3c106ScalarES6_S6_RNS1_6TensorEENKUlvE_clEvENKUlvE3_clEvEUllE_EEvT_T0_PN15function_traitsISD_E11result_typeE,comdat
.Lfunc_end70:
	.size	_ZN12_GLOBAL__N_141elementwise_kernel_with_index_grid_strideIiZZZN2at6native15arange_cuda_outERKN3c106ScalarES6_S6_RNS1_6TensorEENKUlvE_clEvENKUlvE3_clEvEUllE_EEvT_T0_PN15function_traitsISD_E11result_typeE, .Lfunc_end70-_ZN12_GLOBAL__N_141elementwise_kernel_with_index_grid_strideIiZZZN2at6native15arange_cuda_outERKN3c106ScalarES6_S6_RNS1_6TensorEENKUlvE_clEvENKUlvE3_clEvEUllE_EEvT_T0_PN15function_traitsISD_E11result_typeE
                                        ; -- End function
	.set _ZN12_GLOBAL__N_141elementwise_kernel_with_index_grid_strideIiZZZN2at6native15arange_cuda_outERKN3c106ScalarES6_S6_RNS1_6TensorEENKUlvE_clEvENKUlvE3_clEvEUllE_EEvT_T0_PN15function_traitsISD_E11result_typeE.num_vgpr, 20
	.set _ZN12_GLOBAL__N_141elementwise_kernel_with_index_grid_strideIiZZZN2at6native15arange_cuda_outERKN3c106ScalarES6_S6_RNS1_6TensorEENKUlvE_clEvENKUlvE3_clEvEUllE_EEvT_T0_PN15function_traitsISD_E11result_typeE.num_agpr, 0
	.set _ZN12_GLOBAL__N_141elementwise_kernel_with_index_grid_strideIiZZZN2at6native15arange_cuda_outERKN3c106ScalarES6_S6_RNS1_6TensorEENKUlvE_clEvENKUlvE3_clEvEUllE_EEvT_T0_PN15function_traitsISD_E11result_typeE.numbered_sgpr, 24
	.set _ZN12_GLOBAL__N_141elementwise_kernel_with_index_grid_strideIiZZZN2at6native15arange_cuda_outERKN3c106ScalarES6_S6_RNS1_6TensorEENKUlvE_clEvENKUlvE3_clEvEUllE_EEvT_T0_PN15function_traitsISD_E11result_typeE.num_named_barrier, 0
	.set _ZN12_GLOBAL__N_141elementwise_kernel_with_index_grid_strideIiZZZN2at6native15arange_cuda_outERKN3c106ScalarES6_S6_RNS1_6TensorEENKUlvE_clEvENKUlvE3_clEvEUllE_EEvT_T0_PN15function_traitsISD_E11result_typeE.private_seg_size, 0
	.set _ZN12_GLOBAL__N_141elementwise_kernel_with_index_grid_strideIiZZZN2at6native15arange_cuda_outERKN3c106ScalarES6_S6_RNS1_6TensorEENKUlvE_clEvENKUlvE3_clEvEUllE_EEvT_T0_PN15function_traitsISD_E11result_typeE.uses_vcc, 1
	.set _ZN12_GLOBAL__N_141elementwise_kernel_with_index_grid_strideIiZZZN2at6native15arange_cuda_outERKN3c106ScalarES6_S6_RNS1_6TensorEENKUlvE_clEvENKUlvE3_clEvEUllE_EEvT_T0_PN15function_traitsISD_E11result_typeE.uses_flat_scratch, 0
	.set _ZN12_GLOBAL__N_141elementwise_kernel_with_index_grid_strideIiZZZN2at6native15arange_cuda_outERKN3c106ScalarES6_S6_RNS1_6TensorEENKUlvE_clEvENKUlvE3_clEvEUllE_EEvT_T0_PN15function_traitsISD_E11result_typeE.has_dyn_sized_stack, 0
	.set _ZN12_GLOBAL__N_141elementwise_kernel_with_index_grid_strideIiZZZN2at6native15arange_cuda_outERKN3c106ScalarES6_S6_RNS1_6TensorEENKUlvE_clEvENKUlvE3_clEvEUllE_EEvT_T0_PN15function_traitsISD_E11result_typeE.has_recursion, 0
	.set _ZN12_GLOBAL__N_141elementwise_kernel_with_index_grid_strideIiZZZN2at6native15arange_cuda_outERKN3c106ScalarES6_S6_RNS1_6TensorEENKUlvE_clEvENKUlvE3_clEvEUllE_EEvT_T0_PN15function_traitsISD_E11result_typeE.has_indirect_call, 0
	.section	.AMDGPU.csdata,"",@progbits
; Kernel info:
; codeLenInByte = 704
; TotalNumSgprs: 30
; NumVgprs: 20
; NumAgprs: 0
; TotalNumVgprs: 20
; ScratchSize: 0
; MemoryBound: 0
; FloatMode: 240
; IeeeMode: 1
; LDSByteSize: 0 bytes/workgroup (compile time only)
; SGPRBlocks: 3
; VGPRBlocks: 2
; NumSGPRsForWavesPerEU: 30
; NumVGPRsForWavesPerEU: 20
; AccumOffset: 20
; Occupancy: 8
; WaveLimiterHint : 0
; COMPUTE_PGM_RSRC2:SCRATCH_EN: 0
; COMPUTE_PGM_RSRC2:USER_SGPR: 2
; COMPUTE_PGM_RSRC2:TRAP_HANDLER: 0
; COMPUTE_PGM_RSRC2:TGID_X_EN: 1
; COMPUTE_PGM_RSRC2:TGID_Y_EN: 0
; COMPUTE_PGM_RSRC2:TGID_Z_EN: 0
; COMPUTE_PGM_RSRC2:TIDIG_COMP_CNT: 0
; COMPUTE_PGM_RSRC3_GFX90A:ACCUM_OFFSET: 4
; COMPUTE_PGM_RSRC3_GFX90A:TG_SPLIT: 0
	.section	.text._ZN12_GLOBAL__N_141elementwise_kernel_with_index_grid_strideIlZZZN2at6native15arange_cuda_outERKN3c106ScalarES6_S6_RNS1_6TensorEENKUlvE_clEvENKUlvE3_clEvEUllE_EEvT_T0_PN15function_traitsISD_E11result_typeE,"axG",@progbits,_ZN12_GLOBAL__N_141elementwise_kernel_with_index_grid_strideIlZZZN2at6native15arange_cuda_outERKN3c106ScalarES6_S6_RNS1_6TensorEENKUlvE_clEvENKUlvE3_clEvEUllE_EEvT_T0_PN15function_traitsISD_E11result_typeE,comdat
	.globl	_ZN12_GLOBAL__N_141elementwise_kernel_with_index_grid_strideIlZZZN2at6native15arange_cuda_outERKN3c106ScalarES6_S6_RNS1_6TensorEENKUlvE_clEvENKUlvE3_clEvEUllE_EEvT_T0_PN15function_traitsISD_E11result_typeE ; -- Begin function _ZN12_GLOBAL__N_141elementwise_kernel_with_index_grid_strideIlZZZN2at6native15arange_cuda_outERKN3c106ScalarES6_S6_RNS1_6TensorEENKUlvE_clEvENKUlvE3_clEvEUllE_EEvT_T0_PN15function_traitsISD_E11result_typeE
	.p2align	8
	.type	_ZN12_GLOBAL__N_141elementwise_kernel_with_index_grid_strideIlZZZN2at6native15arange_cuda_outERKN3c106ScalarES6_S6_RNS1_6TensorEENKUlvE_clEvENKUlvE3_clEvEUllE_EEvT_T0_PN15function_traitsISD_E11result_typeE,@function
_ZN12_GLOBAL__N_141elementwise_kernel_with_index_grid_strideIlZZZN2at6native15arange_cuda_outERKN3c106ScalarES6_S6_RNS1_6TensorEENKUlvE_clEvENKUlvE3_clEvEUllE_EEvT_T0_PN15function_traitsISD_E11result_typeE: ; @_ZN12_GLOBAL__N_141elementwise_kernel_with_index_grid_strideIlZZZN2at6native15arange_cuda_outERKN3c106ScalarES6_S6_RNS1_6TensorEENKUlvE_clEvENKUlvE3_clEvEUllE_EEvT_T0_PN15function_traitsISD_E11result_typeE
; %bb.0:
	s_load_dword s3, s[0:1], 0x2c
	s_load_dwordx8 s[4:11], s[0:1], 0x0
	s_add_u32 s0, s0, 32
	s_addc_u32 s1, s1, 0
	v_mov_b32_e32 v1, 0
	s_waitcnt lgkmcnt(0)
	s_and_b32 s28, s3, 0xffff
	v_mov_b32_e32 v2, s2
	v_mad_u64_u32 v[2:3], s[12:13], s28, v2, v[0:1]
	v_cmp_gt_i64_e32 vcc, s[4:5], v[2:3]
	s_and_saveexec_b64 s[12:13], vcc
	s_cbranch_execz .LBB71_14
; %bb.1:
	s_load_dword s29, s[0:1], 0x0
	v_mov_b32_e32 v4, s28
	s_mov_b32 s3, 0
	v_mov_b32_e32 v5, s3
	s_waitcnt lgkmcnt(0)
	s_add_u32 s0, s2, s29
	s_addc_u32 s1, 0, 0
	s_mul_i32 s2, s1, s28
	v_mad_u64_u32 v[6:7], s[0:1], s0, v4, v[0:1]
	v_add_u32_e32 v7, s2, v7
	v_cmp_gt_i64_e32 vcc, s[4:5], v[6:7]
	v_mov_b32_e32 v4, s4
	v_mov_b32_e32 v0, s5
	v_cndmask_b32_e32 v8, v6, v4, vcc
	v_cndmask_b32_e64 v4, 0, 1, vcc
	v_cndmask_b32_e32 v0, v7, v0, vcc
	v_lshl_add_u64 v[6:7], v[6:7], 0, v[4:5]
	v_sub_co_u32_e32 v6, vcc, v8, v6
	s_mul_hi_u32 s13, s28, s29
	s_nop 0
	v_subb_co_u32_e32 v7, vcc, v0, v7, vcc
	v_or_b32_e32 v9, s13, v7
	v_mov_b32_e32 v8, v1
	s_mul_i32 s12, s28, s29
	v_cmp_ne_u64_e32 vcc, 0, v[8:9]
                                        ; implicit-def: $vgpr0_vgpr1
	s_and_saveexec_b64 s[0:1], vcc
	s_xor_b64 s[2:3], exec, s[0:1]
	s_cbranch_execz .LBB71_3
; %bb.2:
	v_cvt_f32_u32_e32 v0, s12
	v_cvt_f32_u32_e32 v1, s13
	s_sub_u32 s14, 0, s12
	s_subb_u32 s15, 0, s13
	v_mov_b32_e32 v9, 0
	v_fmamk_f32 v0, v1, 0x4f800000, v0
	v_rcp_f32_e32 v0, v0
	s_nop 0
	v_mul_f32_e32 v0, 0x5f7ffffc, v0
	v_mul_f32_e32 v1, 0x2f800000, v0
	v_trunc_f32_e32 v1, v1
	v_fmamk_f32 v0, v1, 0xcf800000, v0
	v_cvt_u32_f32_e32 v1, v1
	v_cvt_u32_f32_e32 v0, v0
	v_readfirstlane_b32 s16, v1
	v_readfirstlane_b32 s0, v0
	s_mul_i32 s1, s14, s16
	s_mul_hi_u32 s18, s14, s0
	s_mul_i32 s17, s15, s0
	s_add_i32 s1, s18, s1
	s_mul_i32 s19, s14, s0
	s_add_i32 s1, s1, s17
	s_mul_i32 s18, s0, s1
	s_mul_hi_u32 s20, s0, s19
	s_mul_hi_u32 s17, s0, s1
	s_add_u32 s18, s20, s18
	s_addc_u32 s17, 0, s17
	s_mul_hi_u32 s21, s16, s19
	s_mul_i32 s19, s16, s19
	s_add_u32 s18, s18, s19
	s_mul_hi_u32 s20, s16, s1
	s_addc_u32 s17, s17, s21
	s_addc_u32 s18, s20, 0
	s_mul_i32 s1, s16, s1
	s_add_u32 s1, s17, s1
	s_addc_u32 s17, 0, s18
	s_add_u32 s18, s0, s1
	s_cselect_b64 s[0:1], -1, 0
	s_cmp_lg_u64 s[0:1], 0
	s_addc_u32 s16, s16, s17
	s_mul_i32 s0, s14, s16
	s_mul_hi_u32 s1, s14, s18
	s_add_i32 s0, s1, s0
	s_mul_i32 s15, s15, s18
	s_add_i32 s0, s0, s15
	s_mul_i32 s14, s14, s18
	s_mul_hi_u32 s15, s16, s14
	s_mul_i32 s17, s16, s14
	s_mul_i32 s20, s18, s0
	s_mul_hi_u32 s14, s18, s14
	s_mul_hi_u32 s19, s18, s0
	s_add_u32 s14, s14, s20
	s_addc_u32 s19, 0, s19
	s_add_u32 s14, s14, s17
	s_mul_hi_u32 s1, s16, s0
	s_addc_u32 s14, s19, s15
	s_addc_u32 s1, s1, 0
	s_mul_i32 s0, s16, s0
	s_add_u32 s0, s14, s0
	s_addc_u32 s14, 0, s1
	s_add_u32 s15, s18, s0
	s_cselect_b64 s[0:1], -1, 0
	s_cmp_lg_u64 s[0:1], 0
	s_addc_u32 s14, s16, s14
	v_mad_u64_u32 v[0:1], s[0:1], v6, s14, 0
	v_mul_hi_u32 v8, v6, s15
	v_lshl_add_u64 v[0:1], v[8:9], 0, v[0:1]
	v_mad_u64_u32 v[12:13], s[0:1], v7, s15, 0
	v_add_co_u32_e32 v0, vcc, v0, v12
	v_mad_u64_u32 v[10:11], s[0:1], v7, s14, 0
	s_nop 0
	v_addc_co_u32_e32 v8, vcc, v1, v13, vcc
	s_nop 1
	v_addc_co_u32_e32 v11, vcc, 0, v11, vcc
	v_lshl_add_u64 v[0:1], v[8:9], 0, v[10:11]
	v_mul_lo_u32 v10, s13, v0
	v_mul_lo_u32 v11, s12, v1
	v_mad_u64_u32 v[8:9], s[0:1], s12, v0, 0
	v_add3_u32 v12, v9, v11, v10
	v_sub_u32_e32 v9, v7, v12
	v_mov_b32_e32 v10, s13
	v_sub_co_u32_e32 v6, vcc, v6, v8
	s_nop 1
	v_subb_co_u32_e64 v8, s[0:1], v9, v10, vcc
	v_subrev_co_u32_e64 v9, s[0:1], s12, v6
	v_subb_co_u32_e32 v7, vcc, v7, v12, vcc
	s_nop 0
	v_subbrev_co_u32_e64 v8, s[0:1], 0, v8, s[0:1]
	v_cmp_le_u32_e64 s[0:1], s13, v8
	v_cmp_le_u32_e32 vcc, s13, v7
	s_nop 0
	v_cndmask_b32_e64 v10, 0, -1, s[0:1]
	v_cmp_le_u32_e64 s[0:1], s12, v9
	s_nop 1
	v_cndmask_b32_e64 v9, 0, -1, s[0:1]
	v_cmp_eq_u32_e64 s[0:1], s13, v8
	s_nop 1
	v_cndmask_b32_e64 v13, v10, v9, s[0:1]
	v_lshl_add_u64 v[8:9], v[0:1], 0, 2
	v_lshl_add_u64 v[10:11], v[0:1], 0, 1
	v_cmp_ne_u32_e64 s[0:1], 0, v13
	s_nop 1
	v_cndmask_b32_e64 v9, v11, v9, s[0:1]
	v_cndmask_b32_e64 v11, 0, -1, vcc
	v_cmp_le_u32_e32 vcc, s12, v6
	s_nop 1
	v_cndmask_b32_e64 v6, 0, -1, vcc
	v_cmp_eq_u32_e32 vcc, s13, v7
	s_nop 1
	v_cndmask_b32_e32 v6, v11, v6, vcc
	v_cmp_ne_u32_e32 vcc, 0, v6
	v_cndmask_b32_e64 v6, v10, v8, s[0:1]
	s_nop 0
	v_cndmask_b32_e32 v1, v1, v9, vcc
	v_cndmask_b32_e32 v0, v0, v6, vcc
                                        ; implicit-def: $vgpr6
.LBB71_3:
	s_andn2_saveexec_b64 s[0:1], s[2:3]
	s_cbranch_execz .LBB71_5
; %bb.4:
	v_cvt_f32_u32_e32 v0, s12
	s_sub_i32 s2, 0, s12
	v_rcp_iflag_f32_e32 v0, v0
	s_nop 0
	v_mul_f32_e32 v0, 0x4f7ffffe, v0
	v_cvt_u32_f32_e32 v0, v0
	v_mul_lo_u32 v1, s2, v0
	v_mul_hi_u32 v1, v0, v1
	v_add_u32_e32 v0, v0, v1
	v_mul_hi_u32 v0, v6, v0
	v_mul_lo_u32 v1, v0, s12
	v_sub_u32_e32 v1, v6, v1
	v_add_u32_e32 v7, 1, v0
	v_subrev_u32_e32 v6, s12, v1
	v_cmp_le_u32_e32 vcc, s12, v1
	s_nop 1
	v_cndmask_b32_e32 v1, v1, v6, vcc
	v_cndmask_b32_e32 v0, v0, v7, vcc
	v_add_u32_e32 v6, 1, v0
	v_cmp_le_u32_e32 vcc, s12, v1
	v_mov_b32_e32 v1, 0
	s_nop 0
	v_cndmask_b32_e32 v0, v0, v6, vcc
.LBB71_5:
	s_or_b64 exec, exec, s[0:1]
	v_lshl_add_u64 v[0:1], v[0:1], 0, v[4:5]
	v_lshl_add_u64 v[0:1], v[0:1], 0, 1
	v_cmp_lt_u64_e32 vcc, 3, v[0:1]
	s_mov_b64 s[2:3], 0
                                        ; implicit-def: $vgpr4_vgpr5
	s_and_saveexec_b64 s[0:1], vcc
	s_xor_b64 s[0:1], exec, s[0:1]
	s_cbranch_execnz .LBB71_8
; %bb.6:
	s_andn2_saveexec_b64 s[0:1], s[0:1]
	s_cbranch_execnz .LBB71_11
.LBB71_7:
	s_or_b64 exec, exec, s[0:1]
	s_and_b64 exec, exec, s[2:3]
	s_cbranch_execnz .LBB71_12
	s_branch .LBB71_14
.LBB71_8:
	v_mad_u64_u32 v[8:9], s[2:3], s12, 3, v[2:3]
	v_mov_b32_e32 v10, v9
	v_mad_u64_u32 v[6:7], s[2:3], s12, 2, v[2:3]
	v_mad_u64_u32 v[4:5], s[2:3], s12, 1, v[2:3]
	;; [unrolled: 1-line block ×3, first 2 shown]
	v_lshl_add_u32 v7, s13, 1, v7
	v_add_u32_e32 v5, s13, v5
	v_mov_b32_e32 v9, v10
	v_and_b32_e32 v12, -4, v0
	v_mov_b32_e32 v13, v1
	s_lshl_b64 s[14:15], s[12:13], 2
	s_mul_i32 s22, s13, 6
	s_mul_hi_u32 s23, s12, 6
	v_mov_b64_e32 v[10:11], v[8:9]
	s_mov_b32 s30, s8
	s_mov_b32 s31, s8
	;; [unrolled: 1-line block ×14, first 2 shown]
	s_lshl_b64 s[2:3], s[12:13], 1
	s_add_i32 s23, s23, s22
	s_mul_i32 s22, s12, 6
	v_lshl_add_u64 v[14:15], v[2:3], 1, s[10:11]
	s_lshl_b64 s[26:27], s[12:13], 3
	s_mov_b64 s[24:25], 0
	v_mov_b64_e32 v[16:17], v[12:13]
	v_mov_b64_e32 v[8:9], v[6:7]
	v_mov_b64_e32 v[6:7], v[4:5]
	v_mov_b64_e32 v[4:5], v[2:3]
.LBB71_9:                               ; =>This Inner Loop Header: Depth=1
	v_mul_lo_u32 v24, v4, s30
	v_lshl_add_u64 v[16:17], v[16:17], 0, -4
	v_mul_lo_u32 v25, v6, s31
	v_mul_lo_u32 v26, v8, s33
	;; [unrolled: 1-line block ×3, first 2 shown]
	v_add_u32_e32 v24, s35, v24
	v_cmp_eq_u64_e32 vcc, 0, v[16:17]
	v_lshl_add_u64 v[18:19], v[14:15], 0, s[2:3]
	v_lshl_add_u64 v[20:21], v[14:15], 0, s[14:15]
	;; [unrolled: 1-line block ×7, first 2 shown]
	v_add_u32_e32 v27, s38, v27
	v_add_u32_e32 v26, s37, v26
	;; [unrolled: 1-line block ×3, first 2 shown]
	global_store_short v[14:15], v24, off
	global_store_short v[18:19], v25, off
	;; [unrolled: 1-line block ×4, first 2 shown]
	s_or_b64 s[24:25], vcc, s[24:25]
	v_lshl_add_u64 v[14:15], v[14:15], 0, s[26:27]
	s_andn2_b64 exec, exec, s[24:25]
	s_cbranch_execnz .LBB71_9
; %bb.10:
	s_or_b64 exec, exec, s[24:25]
	v_mad_u64_u32 v[2:3], s[14:15], v12, s12, v[2:3]
	v_mul_lo_u32 v4, v12, s13
	v_mul_lo_u32 v5, v13, s12
	v_cmp_ne_u64_e32 vcc, v[0:1], v[12:13]
	v_add3_u32 v3, v5, v3, v4
	v_mov_b64_e32 v[4:5], s[2:3]
	s_and_b64 s[2:3], vcc, exec
	s_andn2_saveexec_b64 s[0:1], s[0:1]
	s_cbranch_execz .LBB71_7
.LBB71_11:
	s_lshl_b64 s[14:15], s[12:13], 1
	v_mov_b64_e32 v[4:5], s[14:15]
	s_or_b64 s[2:3], s[2:3], exec
	s_or_b64 exec, exec, s[0:1]
	s_and_b64 exec, exec, s[2:3]
	s_cbranch_execz .LBB71_14
.LBB71_12:
	v_mov_b64_e32 v[0:1], s[6:7]
	v_mad_u64_u32 v[0:1], s[0:1], v2, s8, v[0:1]
	s_mul_i32 s0, s9, s28
	s_mul_hi_u32 s1, s8, s28
	s_add_i32 s0, s1, s0
	s_mul_i32 s2, s8, s28
	v_mul_lo_u32 v6, v2, s9
	v_mul_lo_u32 v7, v3, s8
	s_mul_i32 s0, s0, s29
	s_mul_hi_u32 s1, s2, s29
	v_add3_u32 v1, v7, v1, v6
	s_add_i32 s1, s1, s0
	s_mul_i32 s0, s2, s29
	v_lshl_add_u64 v[6:7], v[2:3], 1, s[10:11]
	s_mov_b64 s[2:3], 0
.LBB71_13:                              ; =>This Inner Loop Header: Depth=1
	v_lshl_add_u64 v[2:3], v[2:3], 0, s[12:13]
	v_cmp_le_i64_e32 vcc, s[4:5], v[2:3]
	global_store_short v[6:7], v0, off
	v_lshl_add_u64 v[0:1], v[0:1], 0, s[0:1]
	s_or_b64 s[2:3], vcc, s[2:3]
	v_lshl_add_u64 v[6:7], v[6:7], 0, v[4:5]
	s_andn2_b64 exec, exec, s[2:3]
	s_cbranch_execnz .LBB71_13
.LBB71_14:
	s_endpgm
	.section	.rodata,"a",@progbits
	.p2align	6, 0x0
	.amdhsa_kernel _ZN12_GLOBAL__N_141elementwise_kernel_with_index_grid_strideIlZZZN2at6native15arange_cuda_outERKN3c106ScalarES6_S6_RNS1_6TensorEENKUlvE_clEvENKUlvE3_clEvEUllE_EEvT_T0_PN15function_traitsISD_E11result_typeE
		.amdhsa_group_segment_fixed_size 0
		.amdhsa_private_segment_fixed_size 0
		.amdhsa_kernarg_size 288
		.amdhsa_user_sgpr_count 2
		.amdhsa_user_sgpr_dispatch_ptr 0
		.amdhsa_user_sgpr_queue_ptr 0
		.amdhsa_user_sgpr_kernarg_segment_ptr 1
		.amdhsa_user_sgpr_dispatch_id 0
		.amdhsa_user_sgpr_kernarg_preload_length 0
		.amdhsa_user_sgpr_kernarg_preload_offset 0
		.amdhsa_user_sgpr_private_segment_size 0
		.amdhsa_uses_dynamic_stack 0
		.amdhsa_enable_private_segment 0
		.amdhsa_system_sgpr_workgroup_id_x 1
		.amdhsa_system_sgpr_workgroup_id_y 0
		.amdhsa_system_sgpr_workgroup_id_z 0
		.amdhsa_system_sgpr_workgroup_info 0
		.amdhsa_system_vgpr_workitem_id 0
		.amdhsa_next_free_vgpr 28
		.amdhsa_next_free_sgpr 39
		.amdhsa_accum_offset 28
		.amdhsa_reserve_vcc 1
		.amdhsa_float_round_mode_32 0
		.amdhsa_float_round_mode_16_64 0
		.amdhsa_float_denorm_mode_32 3
		.amdhsa_float_denorm_mode_16_64 3
		.amdhsa_dx10_clamp 1
		.amdhsa_ieee_mode 1
		.amdhsa_fp16_overflow 0
		.amdhsa_tg_split 0
		.amdhsa_exception_fp_ieee_invalid_op 0
		.amdhsa_exception_fp_denorm_src 0
		.amdhsa_exception_fp_ieee_div_zero 0
		.amdhsa_exception_fp_ieee_overflow 0
		.amdhsa_exception_fp_ieee_underflow 0
		.amdhsa_exception_fp_ieee_inexact 0
		.amdhsa_exception_int_div_zero 0
	.end_amdhsa_kernel
	.section	.text._ZN12_GLOBAL__N_141elementwise_kernel_with_index_grid_strideIlZZZN2at6native15arange_cuda_outERKN3c106ScalarES6_S6_RNS1_6TensorEENKUlvE_clEvENKUlvE3_clEvEUllE_EEvT_T0_PN15function_traitsISD_E11result_typeE,"axG",@progbits,_ZN12_GLOBAL__N_141elementwise_kernel_with_index_grid_strideIlZZZN2at6native15arange_cuda_outERKN3c106ScalarES6_S6_RNS1_6TensorEENKUlvE_clEvENKUlvE3_clEvEUllE_EEvT_T0_PN15function_traitsISD_E11result_typeE,comdat
.Lfunc_end71:
	.size	_ZN12_GLOBAL__N_141elementwise_kernel_with_index_grid_strideIlZZZN2at6native15arange_cuda_outERKN3c106ScalarES6_S6_RNS1_6TensorEENKUlvE_clEvENKUlvE3_clEvEUllE_EEvT_T0_PN15function_traitsISD_E11result_typeE, .Lfunc_end71-_ZN12_GLOBAL__N_141elementwise_kernel_with_index_grid_strideIlZZZN2at6native15arange_cuda_outERKN3c106ScalarES6_S6_RNS1_6TensorEENKUlvE_clEvENKUlvE3_clEvEUllE_EEvT_T0_PN15function_traitsISD_E11result_typeE
                                        ; -- End function
	.set _ZN12_GLOBAL__N_141elementwise_kernel_with_index_grid_strideIlZZZN2at6native15arange_cuda_outERKN3c106ScalarES6_S6_RNS1_6TensorEENKUlvE_clEvENKUlvE3_clEvEUllE_EEvT_T0_PN15function_traitsISD_E11result_typeE.num_vgpr, 28
	.set _ZN12_GLOBAL__N_141elementwise_kernel_with_index_grid_strideIlZZZN2at6native15arange_cuda_outERKN3c106ScalarES6_S6_RNS1_6TensorEENKUlvE_clEvENKUlvE3_clEvEUllE_EEvT_T0_PN15function_traitsISD_E11result_typeE.num_agpr, 0
	.set _ZN12_GLOBAL__N_141elementwise_kernel_with_index_grid_strideIlZZZN2at6native15arange_cuda_outERKN3c106ScalarES6_S6_RNS1_6TensorEENKUlvE_clEvENKUlvE3_clEvEUllE_EEvT_T0_PN15function_traitsISD_E11result_typeE.numbered_sgpr, 39
	.set _ZN12_GLOBAL__N_141elementwise_kernel_with_index_grid_strideIlZZZN2at6native15arange_cuda_outERKN3c106ScalarES6_S6_RNS1_6TensorEENKUlvE_clEvENKUlvE3_clEvEUllE_EEvT_T0_PN15function_traitsISD_E11result_typeE.num_named_barrier, 0
	.set _ZN12_GLOBAL__N_141elementwise_kernel_with_index_grid_strideIlZZZN2at6native15arange_cuda_outERKN3c106ScalarES6_S6_RNS1_6TensorEENKUlvE_clEvENKUlvE3_clEvEUllE_EEvT_T0_PN15function_traitsISD_E11result_typeE.private_seg_size, 0
	.set _ZN12_GLOBAL__N_141elementwise_kernel_with_index_grid_strideIlZZZN2at6native15arange_cuda_outERKN3c106ScalarES6_S6_RNS1_6TensorEENKUlvE_clEvENKUlvE3_clEvEUllE_EEvT_T0_PN15function_traitsISD_E11result_typeE.uses_vcc, 1
	.set _ZN12_GLOBAL__N_141elementwise_kernel_with_index_grid_strideIlZZZN2at6native15arange_cuda_outERKN3c106ScalarES6_S6_RNS1_6TensorEENKUlvE_clEvENKUlvE3_clEvEUllE_EEvT_T0_PN15function_traitsISD_E11result_typeE.uses_flat_scratch, 0
	.set _ZN12_GLOBAL__N_141elementwise_kernel_with_index_grid_strideIlZZZN2at6native15arange_cuda_outERKN3c106ScalarES6_S6_RNS1_6TensorEENKUlvE_clEvENKUlvE3_clEvEUllE_EEvT_T0_PN15function_traitsISD_E11result_typeE.has_dyn_sized_stack, 0
	.set _ZN12_GLOBAL__N_141elementwise_kernel_with_index_grid_strideIlZZZN2at6native15arange_cuda_outERKN3c106ScalarES6_S6_RNS1_6TensorEENKUlvE_clEvENKUlvE3_clEvEUllE_EEvT_T0_PN15function_traitsISD_E11result_typeE.has_recursion, 0
	.set _ZN12_GLOBAL__N_141elementwise_kernel_with_index_grid_strideIlZZZN2at6native15arange_cuda_outERKN3c106ScalarES6_S6_RNS1_6TensorEENKUlvE_clEvENKUlvE3_clEvEUllE_EEvT_T0_PN15function_traitsISD_E11result_typeE.has_indirect_call, 0
	.section	.AMDGPU.csdata,"",@progbits
; Kernel info:
; codeLenInByte = 1512
; TotalNumSgprs: 45
; NumVgprs: 28
; NumAgprs: 0
; TotalNumVgprs: 28
; ScratchSize: 0
; MemoryBound: 0
; FloatMode: 240
; IeeeMode: 1
; LDSByteSize: 0 bytes/workgroup (compile time only)
; SGPRBlocks: 5
; VGPRBlocks: 3
; NumSGPRsForWavesPerEU: 45
; NumVGPRsForWavesPerEU: 28
; AccumOffset: 28
; Occupancy: 8
; WaveLimiterHint : 0
; COMPUTE_PGM_RSRC2:SCRATCH_EN: 0
; COMPUTE_PGM_RSRC2:USER_SGPR: 2
; COMPUTE_PGM_RSRC2:TRAP_HANDLER: 0
; COMPUTE_PGM_RSRC2:TGID_X_EN: 1
; COMPUTE_PGM_RSRC2:TGID_Y_EN: 0
; COMPUTE_PGM_RSRC2:TGID_Z_EN: 0
; COMPUTE_PGM_RSRC2:TIDIG_COMP_CNT: 0
; COMPUTE_PGM_RSRC3_GFX90A:ACCUM_OFFSET: 6
; COMPUTE_PGM_RSRC3_GFX90A:TG_SPLIT: 0
	.section	.text._ZN12_GLOBAL__N_141elementwise_kernel_with_index_grid_strideIiZZZN2at6native15arange_cuda_outERKN3c106ScalarES6_S6_RNS1_6TensorEENKUlvE_clEvENKUlvE4_clEvEUllE_EEvT_T0_PN15function_traitsISD_E11result_typeE,"axG",@progbits,_ZN12_GLOBAL__N_141elementwise_kernel_with_index_grid_strideIiZZZN2at6native15arange_cuda_outERKN3c106ScalarES6_S6_RNS1_6TensorEENKUlvE_clEvENKUlvE4_clEvEUllE_EEvT_T0_PN15function_traitsISD_E11result_typeE,comdat
	.globl	_ZN12_GLOBAL__N_141elementwise_kernel_with_index_grid_strideIiZZZN2at6native15arange_cuda_outERKN3c106ScalarES6_S6_RNS1_6TensorEENKUlvE_clEvENKUlvE4_clEvEUllE_EEvT_T0_PN15function_traitsISD_E11result_typeE ; -- Begin function _ZN12_GLOBAL__N_141elementwise_kernel_with_index_grid_strideIiZZZN2at6native15arange_cuda_outERKN3c106ScalarES6_S6_RNS1_6TensorEENKUlvE_clEvENKUlvE4_clEvEUllE_EEvT_T0_PN15function_traitsISD_E11result_typeE
	.p2align	8
	.type	_ZN12_GLOBAL__N_141elementwise_kernel_with_index_grid_strideIiZZZN2at6native15arange_cuda_outERKN3c106ScalarES6_S6_RNS1_6TensorEENKUlvE_clEvENKUlvE4_clEvEUllE_EEvT_T0_PN15function_traitsISD_E11result_typeE,@function
_ZN12_GLOBAL__N_141elementwise_kernel_with_index_grid_strideIiZZZN2at6native15arange_cuda_outERKN3c106ScalarES6_S6_RNS1_6TensorEENKUlvE_clEvENKUlvE4_clEvEUllE_EEvT_T0_PN15function_traitsISD_E11result_typeE: ; @_ZN12_GLOBAL__N_141elementwise_kernel_with_index_grid_strideIiZZZN2at6native15arange_cuda_outERKN3c106ScalarES6_S6_RNS1_6TensorEENKUlvE_clEvENKUlvE4_clEvEUllE_EEvT_T0_PN15function_traitsISD_E11result_typeE
; %bb.0:
	s_load_dword s3, s[0:1], 0x2c
	s_load_dword s10, s[0:1], 0x0
	s_add_u32 s8, s0, 32
	s_addc_u32 s9, s1, 0
	s_waitcnt lgkmcnt(0)
	s_and_b32 s3, s3, 0xffff
	s_mul_i32 s2, s2, s3
	v_add_u32_e32 v0, s2, v0
	v_cmp_gt_i32_e32 vcc, s10, v0
	s_and_saveexec_b64 s[4:5], vcc
	s_cbranch_execz .LBB72_3
; %bb.1:
	s_load_dword s2, s[8:9], 0x0
	s_load_dwordx2 s[12:13], s[0:1], 0x18
	s_load_dwordx4 s[4:7], s[0:1], 0x8
	v_ashrrev_i32_e32 v1, 31, v0
	s_mov_b64 s[8:9], 0
	s_waitcnt lgkmcnt(0)
	s_mul_i32 s0, s2, s3
	s_ashr_i32 s1, s0, 31
	v_lshl_add_u64 v[2:3], v[0:1], 3, s[12:13]
	s_lshl_b64 s[2:3], s[0:1], 3
	v_mov_b64_e32 v[4:5], s[4:5]
.LBB72_2:                               ; =>This Inner Loop Header: Depth=1
	v_cvt_f64_i32_e32 v[6:7], v0
	v_add_u32_e32 v0, s0, v0
	v_fma_f64 v[6:7], s[6:7], v[6:7], v[4:5]
	v_cmp_le_i32_e32 vcc, s10, v0
	global_store_dwordx2 v[2:3], v[6:7], off
	s_or_b64 s[8:9], vcc, s[8:9]
	v_lshl_add_u64 v[2:3], v[2:3], 0, s[2:3]
	s_andn2_b64 exec, exec, s[8:9]
	s_cbranch_execnz .LBB72_2
.LBB72_3:
	s_endpgm
	.section	.rodata,"a",@progbits
	.p2align	6, 0x0
	.amdhsa_kernel _ZN12_GLOBAL__N_141elementwise_kernel_with_index_grid_strideIiZZZN2at6native15arange_cuda_outERKN3c106ScalarES6_S6_RNS1_6TensorEENKUlvE_clEvENKUlvE4_clEvEUllE_EEvT_T0_PN15function_traitsISD_E11result_typeE
		.amdhsa_group_segment_fixed_size 0
		.amdhsa_private_segment_fixed_size 0
		.amdhsa_kernarg_size 288
		.amdhsa_user_sgpr_count 2
		.amdhsa_user_sgpr_dispatch_ptr 0
		.amdhsa_user_sgpr_queue_ptr 0
		.amdhsa_user_sgpr_kernarg_segment_ptr 1
		.amdhsa_user_sgpr_dispatch_id 0
		.amdhsa_user_sgpr_kernarg_preload_length 0
		.amdhsa_user_sgpr_kernarg_preload_offset 0
		.amdhsa_user_sgpr_private_segment_size 0
		.amdhsa_uses_dynamic_stack 0
		.amdhsa_enable_private_segment 0
		.amdhsa_system_sgpr_workgroup_id_x 1
		.amdhsa_system_sgpr_workgroup_id_y 0
		.amdhsa_system_sgpr_workgroup_id_z 0
		.amdhsa_system_sgpr_workgroup_info 0
		.amdhsa_system_vgpr_workitem_id 0
		.amdhsa_next_free_vgpr 8
		.amdhsa_next_free_sgpr 14
		.amdhsa_accum_offset 8
		.amdhsa_reserve_vcc 1
		.amdhsa_float_round_mode_32 0
		.amdhsa_float_round_mode_16_64 0
		.amdhsa_float_denorm_mode_32 3
		.amdhsa_float_denorm_mode_16_64 3
		.amdhsa_dx10_clamp 1
		.amdhsa_ieee_mode 1
		.amdhsa_fp16_overflow 0
		.amdhsa_tg_split 0
		.amdhsa_exception_fp_ieee_invalid_op 0
		.amdhsa_exception_fp_denorm_src 0
		.amdhsa_exception_fp_ieee_div_zero 0
		.amdhsa_exception_fp_ieee_overflow 0
		.amdhsa_exception_fp_ieee_underflow 0
		.amdhsa_exception_fp_ieee_inexact 0
		.amdhsa_exception_int_div_zero 0
	.end_amdhsa_kernel
	.section	.text._ZN12_GLOBAL__N_141elementwise_kernel_with_index_grid_strideIiZZZN2at6native15arange_cuda_outERKN3c106ScalarES6_S6_RNS1_6TensorEENKUlvE_clEvENKUlvE4_clEvEUllE_EEvT_T0_PN15function_traitsISD_E11result_typeE,"axG",@progbits,_ZN12_GLOBAL__N_141elementwise_kernel_with_index_grid_strideIiZZZN2at6native15arange_cuda_outERKN3c106ScalarES6_S6_RNS1_6TensorEENKUlvE_clEvENKUlvE4_clEvEUllE_EEvT_T0_PN15function_traitsISD_E11result_typeE,comdat
.Lfunc_end72:
	.size	_ZN12_GLOBAL__N_141elementwise_kernel_with_index_grid_strideIiZZZN2at6native15arange_cuda_outERKN3c106ScalarES6_S6_RNS1_6TensorEENKUlvE_clEvENKUlvE4_clEvEUllE_EEvT_T0_PN15function_traitsISD_E11result_typeE, .Lfunc_end72-_ZN12_GLOBAL__N_141elementwise_kernel_with_index_grid_strideIiZZZN2at6native15arange_cuda_outERKN3c106ScalarES6_S6_RNS1_6TensorEENKUlvE_clEvENKUlvE4_clEvEUllE_EEvT_T0_PN15function_traitsISD_E11result_typeE
                                        ; -- End function
	.set _ZN12_GLOBAL__N_141elementwise_kernel_with_index_grid_strideIiZZZN2at6native15arange_cuda_outERKN3c106ScalarES6_S6_RNS1_6TensorEENKUlvE_clEvENKUlvE4_clEvEUllE_EEvT_T0_PN15function_traitsISD_E11result_typeE.num_vgpr, 8
	.set _ZN12_GLOBAL__N_141elementwise_kernel_with_index_grid_strideIiZZZN2at6native15arange_cuda_outERKN3c106ScalarES6_S6_RNS1_6TensorEENKUlvE_clEvENKUlvE4_clEvEUllE_EEvT_T0_PN15function_traitsISD_E11result_typeE.num_agpr, 0
	.set _ZN12_GLOBAL__N_141elementwise_kernel_with_index_grid_strideIiZZZN2at6native15arange_cuda_outERKN3c106ScalarES6_S6_RNS1_6TensorEENKUlvE_clEvENKUlvE4_clEvEUllE_EEvT_T0_PN15function_traitsISD_E11result_typeE.numbered_sgpr, 14
	.set _ZN12_GLOBAL__N_141elementwise_kernel_with_index_grid_strideIiZZZN2at6native15arange_cuda_outERKN3c106ScalarES6_S6_RNS1_6TensorEENKUlvE_clEvENKUlvE4_clEvEUllE_EEvT_T0_PN15function_traitsISD_E11result_typeE.num_named_barrier, 0
	.set _ZN12_GLOBAL__N_141elementwise_kernel_with_index_grid_strideIiZZZN2at6native15arange_cuda_outERKN3c106ScalarES6_S6_RNS1_6TensorEENKUlvE_clEvENKUlvE4_clEvEUllE_EEvT_T0_PN15function_traitsISD_E11result_typeE.private_seg_size, 0
	.set _ZN12_GLOBAL__N_141elementwise_kernel_with_index_grid_strideIiZZZN2at6native15arange_cuda_outERKN3c106ScalarES6_S6_RNS1_6TensorEENKUlvE_clEvENKUlvE4_clEvEUllE_EEvT_T0_PN15function_traitsISD_E11result_typeE.uses_vcc, 1
	.set _ZN12_GLOBAL__N_141elementwise_kernel_with_index_grid_strideIiZZZN2at6native15arange_cuda_outERKN3c106ScalarES6_S6_RNS1_6TensorEENKUlvE_clEvENKUlvE4_clEvEUllE_EEvT_T0_PN15function_traitsISD_E11result_typeE.uses_flat_scratch, 0
	.set _ZN12_GLOBAL__N_141elementwise_kernel_with_index_grid_strideIiZZZN2at6native15arange_cuda_outERKN3c106ScalarES6_S6_RNS1_6TensorEENKUlvE_clEvENKUlvE4_clEvEUllE_EEvT_T0_PN15function_traitsISD_E11result_typeE.has_dyn_sized_stack, 0
	.set _ZN12_GLOBAL__N_141elementwise_kernel_with_index_grid_strideIiZZZN2at6native15arange_cuda_outERKN3c106ScalarES6_S6_RNS1_6TensorEENKUlvE_clEvENKUlvE4_clEvEUllE_EEvT_T0_PN15function_traitsISD_E11result_typeE.has_recursion, 0
	.set _ZN12_GLOBAL__N_141elementwise_kernel_with_index_grid_strideIiZZZN2at6native15arange_cuda_outERKN3c106ScalarES6_S6_RNS1_6TensorEENKUlvE_clEvENKUlvE4_clEvEUllE_EEvT_T0_PN15function_traitsISD_E11result_typeE.has_indirect_call, 0
	.section	.AMDGPU.csdata,"",@progbits
; Kernel info:
; codeLenInByte = 168
; TotalNumSgprs: 20
; NumVgprs: 8
; NumAgprs: 0
; TotalNumVgprs: 8
; ScratchSize: 0
; MemoryBound: 0
; FloatMode: 240
; IeeeMode: 1
; LDSByteSize: 0 bytes/workgroup (compile time only)
; SGPRBlocks: 2
; VGPRBlocks: 0
; NumSGPRsForWavesPerEU: 20
; NumVGPRsForWavesPerEU: 8
; AccumOffset: 8
; Occupancy: 8
; WaveLimiterHint : 0
; COMPUTE_PGM_RSRC2:SCRATCH_EN: 0
; COMPUTE_PGM_RSRC2:USER_SGPR: 2
; COMPUTE_PGM_RSRC2:TRAP_HANDLER: 0
; COMPUTE_PGM_RSRC2:TGID_X_EN: 1
; COMPUTE_PGM_RSRC2:TGID_Y_EN: 0
; COMPUTE_PGM_RSRC2:TGID_Z_EN: 0
; COMPUTE_PGM_RSRC2:TIDIG_COMP_CNT: 0
; COMPUTE_PGM_RSRC3_GFX90A:ACCUM_OFFSET: 1
; COMPUTE_PGM_RSRC3_GFX90A:TG_SPLIT: 0
	.section	.text._ZN12_GLOBAL__N_141elementwise_kernel_with_index_grid_strideIlZZZN2at6native15arange_cuda_outERKN3c106ScalarES6_S6_RNS1_6TensorEENKUlvE_clEvENKUlvE4_clEvEUllE_EEvT_T0_PN15function_traitsISD_E11result_typeE,"axG",@progbits,_ZN12_GLOBAL__N_141elementwise_kernel_with_index_grid_strideIlZZZN2at6native15arange_cuda_outERKN3c106ScalarES6_S6_RNS1_6TensorEENKUlvE_clEvENKUlvE4_clEvEUllE_EEvT_T0_PN15function_traitsISD_E11result_typeE,comdat
	.globl	_ZN12_GLOBAL__N_141elementwise_kernel_with_index_grid_strideIlZZZN2at6native15arange_cuda_outERKN3c106ScalarES6_S6_RNS1_6TensorEENKUlvE_clEvENKUlvE4_clEvEUllE_EEvT_T0_PN15function_traitsISD_E11result_typeE ; -- Begin function _ZN12_GLOBAL__N_141elementwise_kernel_with_index_grid_strideIlZZZN2at6native15arange_cuda_outERKN3c106ScalarES6_S6_RNS1_6TensorEENKUlvE_clEvENKUlvE4_clEvEUllE_EEvT_T0_PN15function_traitsISD_E11result_typeE
	.p2align	8
	.type	_ZN12_GLOBAL__N_141elementwise_kernel_with_index_grid_strideIlZZZN2at6native15arange_cuda_outERKN3c106ScalarES6_S6_RNS1_6TensorEENKUlvE_clEvENKUlvE4_clEvEUllE_EEvT_T0_PN15function_traitsISD_E11result_typeE,@function
_ZN12_GLOBAL__N_141elementwise_kernel_with_index_grid_strideIlZZZN2at6native15arange_cuda_outERKN3c106ScalarES6_S6_RNS1_6TensorEENKUlvE_clEvENKUlvE4_clEvEUllE_EEvT_T0_PN15function_traitsISD_E11result_typeE: ; @_ZN12_GLOBAL__N_141elementwise_kernel_with_index_grid_strideIlZZZN2at6native15arange_cuda_outERKN3c106ScalarES6_S6_RNS1_6TensorEENKUlvE_clEvENKUlvE4_clEvEUllE_EEvT_T0_PN15function_traitsISD_E11result_typeE
; %bb.0:
	s_load_dword s3, s[0:1], 0x2c
	s_load_dwordx8 s[4:11], s[0:1], 0x0
	s_add_u32 s0, s0, 32
	s_addc_u32 s1, s1, 0
	v_mov_b32_e32 v1, 0
	s_waitcnt lgkmcnt(0)
	s_and_b32 s3, s3, 0xffff
	v_mov_b32_e32 v2, s2
	v_mad_u64_u32 v[0:1], s[12:13], s3, v2, v[0:1]
	v_cmp_gt_i64_e32 vcc, s[4:5], v[0:1]
	s_and_saveexec_b64 s[12:13], vcc
	s_cbranch_execz .LBB73_3
; %bb.1:
	s_load_dword s0, s[0:1], 0x0
	v_mov_b32_e32 v2, s10
	v_mov_b32_e32 v3, s11
	v_lshl_add_u64 v[2:3], v[0:1], 3, v[2:3]
	s_mov_b64 s[10:11], 0
	s_waitcnt lgkmcnt(0)
	s_mul_hi_u32 s1, s3, s0
	s_mul_i32 s0, s3, s0
	s_lshl_b64 s[2:3], s[0:1], 3
	v_mov_b64_e32 v[4:5], s[6:7]
.LBB73_2:                               ; =>This Inner Loop Header: Depth=1
	v_cvt_f64_u32_e32 v[6:7], v1
	v_cvt_f64_u32_e32 v[8:9], v0
	v_ldexp_f64 v[6:7], v[6:7], 32
	v_lshl_add_u64 v[0:1], v[0:1], 0, s[0:1]
	v_add_f64 v[6:7], v[6:7], v[8:9]
	v_cmp_le_i64_e32 vcc, s[4:5], v[0:1]
	v_fma_f64 v[6:7], s[8:9], v[6:7], v[4:5]
	s_or_b64 s[10:11], vcc, s[10:11]
	global_store_dwordx2 v[2:3], v[6:7], off
	v_lshl_add_u64 v[2:3], v[2:3], 0, s[2:3]
	s_andn2_b64 exec, exec, s[10:11]
	s_cbranch_execnz .LBB73_2
.LBB73_3:
	s_endpgm
	.section	.rodata,"a",@progbits
	.p2align	6, 0x0
	.amdhsa_kernel _ZN12_GLOBAL__N_141elementwise_kernel_with_index_grid_strideIlZZZN2at6native15arange_cuda_outERKN3c106ScalarES6_S6_RNS1_6TensorEENKUlvE_clEvENKUlvE4_clEvEUllE_EEvT_T0_PN15function_traitsISD_E11result_typeE
		.amdhsa_group_segment_fixed_size 0
		.amdhsa_private_segment_fixed_size 0
		.amdhsa_kernarg_size 288
		.amdhsa_user_sgpr_count 2
		.amdhsa_user_sgpr_dispatch_ptr 0
		.amdhsa_user_sgpr_queue_ptr 0
		.amdhsa_user_sgpr_kernarg_segment_ptr 1
		.amdhsa_user_sgpr_dispatch_id 0
		.amdhsa_user_sgpr_kernarg_preload_length 0
		.amdhsa_user_sgpr_kernarg_preload_offset 0
		.amdhsa_user_sgpr_private_segment_size 0
		.amdhsa_uses_dynamic_stack 0
		.amdhsa_enable_private_segment 0
		.amdhsa_system_sgpr_workgroup_id_x 1
		.amdhsa_system_sgpr_workgroup_id_y 0
		.amdhsa_system_sgpr_workgroup_id_z 0
		.amdhsa_system_sgpr_workgroup_info 0
		.amdhsa_system_vgpr_workitem_id 0
		.amdhsa_next_free_vgpr 10
		.amdhsa_next_free_sgpr 14
		.amdhsa_accum_offset 12
		.amdhsa_reserve_vcc 1
		.amdhsa_float_round_mode_32 0
		.amdhsa_float_round_mode_16_64 0
		.amdhsa_float_denorm_mode_32 3
		.amdhsa_float_denorm_mode_16_64 3
		.amdhsa_dx10_clamp 1
		.amdhsa_ieee_mode 1
		.amdhsa_fp16_overflow 0
		.amdhsa_tg_split 0
		.amdhsa_exception_fp_ieee_invalid_op 0
		.amdhsa_exception_fp_denorm_src 0
		.amdhsa_exception_fp_ieee_div_zero 0
		.amdhsa_exception_fp_ieee_overflow 0
		.amdhsa_exception_fp_ieee_underflow 0
		.amdhsa_exception_fp_ieee_inexact 0
		.amdhsa_exception_int_div_zero 0
	.end_amdhsa_kernel
	.section	.text._ZN12_GLOBAL__N_141elementwise_kernel_with_index_grid_strideIlZZZN2at6native15arange_cuda_outERKN3c106ScalarES6_S6_RNS1_6TensorEENKUlvE_clEvENKUlvE4_clEvEUllE_EEvT_T0_PN15function_traitsISD_E11result_typeE,"axG",@progbits,_ZN12_GLOBAL__N_141elementwise_kernel_with_index_grid_strideIlZZZN2at6native15arange_cuda_outERKN3c106ScalarES6_S6_RNS1_6TensorEENKUlvE_clEvENKUlvE4_clEvEUllE_EEvT_T0_PN15function_traitsISD_E11result_typeE,comdat
.Lfunc_end73:
	.size	_ZN12_GLOBAL__N_141elementwise_kernel_with_index_grid_strideIlZZZN2at6native15arange_cuda_outERKN3c106ScalarES6_S6_RNS1_6TensorEENKUlvE_clEvENKUlvE4_clEvEUllE_EEvT_T0_PN15function_traitsISD_E11result_typeE, .Lfunc_end73-_ZN12_GLOBAL__N_141elementwise_kernel_with_index_grid_strideIlZZZN2at6native15arange_cuda_outERKN3c106ScalarES6_S6_RNS1_6TensorEENKUlvE_clEvENKUlvE4_clEvEUllE_EEvT_T0_PN15function_traitsISD_E11result_typeE
                                        ; -- End function
	.set _ZN12_GLOBAL__N_141elementwise_kernel_with_index_grid_strideIlZZZN2at6native15arange_cuda_outERKN3c106ScalarES6_S6_RNS1_6TensorEENKUlvE_clEvENKUlvE4_clEvEUllE_EEvT_T0_PN15function_traitsISD_E11result_typeE.num_vgpr, 10
	.set _ZN12_GLOBAL__N_141elementwise_kernel_with_index_grid_strideIlZZZN2at6native15arange_cuda_outERKN3c106ScalarES6_S6_RNS1_6TensorEENKUlvE_clEvENKUlvE4_clEvEUllE_EEvT_T0_PN15function_traitsISD_E11result_typeE.num_agpr, 0
	.set _ZN12_GLOBAL__N_141elementwise_kernel_with_index_grid_strideIlZZZN2at6native15arange_cuda_outERKN3c106ScalarES6_S6_RNS1_6TensorEENKUlvE_clEvENKUlvE4_clEvEUllE_EEvT_T0_PN15function_traitsISD_E11result_typeE.numbered_sgpr, 14
	.set _ZN12_GLOBAL__N_141elementwise_kernel_with_index_grid_strideIlZZZN2at6native15arange_cuda_outERKN3c106ScalarES6_S6_RNS1_6TensorEENKUlvE_clEvENKUlvE4_clEvEUllE_EEvT_T0_PN15function_traitsISD_E11result_typeE.num_named_barrier, 0
	.set _ZN12_GLOBAL__N_141elementwise_kernel_with_index_grid_strideIlZZZN2at6native15arange_cuda_outERKN3c106ScalarES6_S6_RNS1_6TensorEENKUlvE_clEvENKUlvE4_clEvEUllE_EEvT_T0_PN15function_traitsISD_E11result_typeE.private_seg_size, 0
	.set _ZN12_GLOBAL__N_141elementwise_kernel_with_index_grid_strideIlZZZN2at6native15arange_cuda_outERKN3c106ScalarES6_S6_RNS1_6TensorEENKUlvE_clEvENKUlvE4_clEvEUllE_EEvT_T0_PN15function_traitsISD_E11result_typeE.uses_vcc, 1
	.set _ZN12_GLOBAL__N_141elementwise_kernel_with_index_grid_strideIlZZZN2at6native15arange_cuda_outERKN3c106ScalarES6_S6_RNS1_6TensorEENKUlvE_clEvENKUlvE4_clEvEUllE_EEvT_T0_PN15function_traitsISD_E11result_typeE.uses_flat_scratch, 0
	.set _ZN12_GLOBAL__N_141elementwise_kernel_with_index_grid_strideIlZZZN2at6native15arange_cuda_outERKN3c106ScalarES6_S6_RNS1_6TensorEENKUlvE_clEvENKUlvE4_clEvEUllE_EEvT_T0_PN15function_traitsISD_E11result_typeE.has_dyn_sized_stack, 0
	.set _ZN12_GLOBAL__N_141elementwise_kernel_with_index_grid_strideIlZZZN2at6native15arange_cuda_outERKN3c106ScalarES6_S6_RNS1_6TensorEENKUlvE_clEvENKUlvE4_clEvEUllE_EEvT_T0_PN15function_traitsISD_E11result_typeE.has_recursion, 0
	.set _ZN12_GLOBAL__N_141elementwise_kernel_with_index_grid_strideIlZZZN2at6native15arange_cuda_outERKN3c106ScalarES6_S6_RNS1_6TensorEENKUlvE_clEvENKUlvE4_clEvEUllE_EEvT_T0_PN15function_traitsISD_E11result_typeE.has_indirect_call, 0
	.section	.AMDGPU.csdata,"",@progbits
; Kernel info:
; codeLenInByte = 188
; TotalNumSgprs: 20
; NumVgprs: 10
; NumAgprs: 0
; TotalNumVgprs: 10
; ScratchSize: 0
; MemoryBound: 0
; FloatMode: 240
; IeeeMode: 1
; LDSByteSize: 0 bytes/workgroup (compile time only)
; SGPRBlocks: 2
; VGPRBlocks: 1
; NumSGPRsForWavesPerEU: 20
; NumVGPRsForWavesPerEU: 10
; AccumOffset: 12
; Occupancy: 8
; WaveLimiterHint : 0
; COMPUTE_PGM_RSRC2:SCRATCH_EN: 0
; COMPUTE_PGM_RSRC2:USER_SGPR: 2
; COMPUTE_PGM_RSRC2:TRAP_HANDLER: 0
; COMPUTE_PGM_RSRC2:TGID_X_EN: 1
; COMPUTE_PGM_RSRC2:TGID_Y_EN: 0
; COMPUTE_PGM_RSRC2:TGID_Z_EN: 0
; COMPUTE_PGM_RSRC2:TIDIG_COMP_CNT: 0
; COMPUTE_PGM_RSRC3_GFX90A:ACCUM_OFFSET: 2
; COMPUTE_PGM_RSRC3_GFX90A:TG_SPLIT: 0
	.section	.text._ZN12_GLOBAL__N_141elementwise_kernel_with_index_grid_strideIiZZZN2at6native15arange_cuda_outERKN3c106ScalarES6_S6_RNS1_6TensorEENKUlvE_clEvENKUlvE5_clEvEUllE_EEvT_T0_PN15function_traitsISD_E11result_typeE,"axG",@progbits,_ZN12_GLOBAL__N_141elementwise_kernel_with_index_grid_strideIiZZZN2at6native15arange_cuda_outERKN3c106ScalarES6_S6_RNS1_6TensorEENKUlvE_clEvENKUlvE5_clEvEUllE_EEvT_T0_PN15function_traitsISD_E11result_typeE,comdat
	.globl	_ZN12_GLOBAL__N_141elementwise_kernel_with_index_grid_strideIiZZZN2at6native15arange_cuda_outERKN3c106ScalarES6_S6_RNS1_6TensorEENKUlvE_clEvENKUlvE5_clEvEUllE_EEvT_T0_PN15function_traitsISD_E11result_typeE ; -- Begin function _ZN12_GLOBAL__N_141elementwise_kernel_with_index_grid_strideIiZZZN2at6native15arange_cuda_outERKN3c106ScalarES6_S6_RNS1_6TensorEENKUlvE_clEvENKUlvE5_clEvEUllE_EEvT_T0_PN15function_traitsISD_E11result_typeE
	.p2align	8
	.type	_ZN12_GLOBAL__N_141elementwise_kernel_with_index_grid_strideIiZZZN2at6native15arange_cuda_outERKN3c106ScalarES6_S6_RNS1_6TensorEENKUlvE_clEvENKUlvE5_clEvEUllE_EEvT_T0_PN15function_traitsISD_E11result_typeE,@function
_ZN12_GLOBAL__N_141elementwise_kernel_with_index_grid_strideIiZZZN2at6native15arange_cuda_outERKN3c106ScalarES6_S6_RNS1_6TensorEENKUlvE_clEvENKUlvE5_clEvEUllE_EEvT_T0_PN15function_traitsISD_E11result_typeE: ; @_ZN12_GLOBAL__N_141elementwise_kernel_with_index_grid_strideIiZZZN2at6native15arange_cuda_outERKN3c106ScalarES6_S6_RNS1_6TensorEENKUlvE_clEvENKUlvE5_clEvEUllE_EEvT_T0_PN15function_traitsISD_E11result_typeE
; %bb.0:
	s_load_dword s3, s[0:1], 0x24
	s_load_dwordx4 s[4:7], s[0:1], 0x0
	s_add_u32 s8, s0, 24
	s_addc_u32 s9, s1, 0
	s_waitcnt lgkmcnt(0)
	s_and_b32 s3, s3, 0xffff
	s_mul_i32 s7, s2, s3
	v_add_u32_e32 v2, s7, v0
	v_cmp_gt_i32_e32 vcc, s4, v2
	s_and_saveexec_b64 s[10:11], vcc
	s_cbranch_execz .LBB74_8
; %bb.1:
	s_load_dword s7, s[8:9], 0x0
	s_load_dwordx2 s[10:11], s[0:1], 0x10
	s_waitcnt lgkmcnt(0)
	s_mul_i32 s8, s7, s3
	v_cvt_f32_u32_e32 v1, s8
	s_add_i32 s0, s2, s7
	s_mul_i32 s0, s0, s3
	s_sub_i32 s2, 0, s8
	v_rcp_iflag_f32_e32 v1, v1
	v_add_u32_e32 v3, s0, v0
	v_mov_b32_e32 v4, s0
	v_max_i32_e32 v5, s4, v3
	v_mul_f32_e32 v1, 0x4f7ffffe, v1
	v_cvt_u32_f32_e32 v1, v1
	v_cmp_gt_i32_e32 vcc, s4, v3
	v_mul_lo_u32 v3, s2, v1
	s_nop 0
	v_addc_co_u32_e64 v0, s[0:1], v0, v4, vcc
	v_mul_hi_u32 v3, v1, v3
	v_sub_u32_e32 v0, v5, v0
	v_add_u32_e32 v1, v1, v3
	v_mul_hi_u32 v1, v0, v1
	v_mul_lo_u32 v3, v1, s8
	v_sub_u32_e32 v0, v0, v3
	v_add_u32_e32 v4, 1, v1
	v_cmp_le_u32_e64 s[0:1], s8, v0
	v_subrev_u32_e32 v3, s8, v0
	s_mov_b64 s[2:3], -1
	v_cndmask_b32_e64 v1, v1, v4, s[0:1]
	v_cndmask_b32_e64 v0, v0, v3, s[0:1]
	v_add_u32_e32 v3, 1, v1
	v_cmp_le_u32_e64 s[0:1], s8, v0
	s_nop 1
	v_cndmask_b32_e64 v0, v1, v3, s[0:1]
	v_addc_co_u32_e32 v6, vcc, 1, v0, vcc
	v_cmp_lt_u32_e32 vcc, 1, v6
	s_and_saveexec_b64 s[0:1], vcc
	s_cbranch_execz .LBB74_5
; %bb.2:
	v_and_b32_e32 v7, -2, v6
	s_mov_b32 s14, s5
	s_mov_b32 s15, s5
	v_add_u32_e32 v3, s8, v2
	s_lshl_b32 s9, s8, 1
	s_mov_b32 s7, s6
	s_mov_b32 s12, s9
	s_mov_b64 s[2:3], 0
	v_mov_b64_e32 v[0:1], s[14:15]
	v_mov_b32_e32 v8, v7
	v_mov_b64_e32 v[4:5], v[2:3]
.LBB74_3:                               ; =>This Inner Loop Header: Depth=1
	v_cvt_f32_i32_e32 v15, v5
	v_cvt_f32_i32_e32 v14, v4
	v_add_u32_e32 v8, -2, v8
	v_ashrrev_i32_e32 v13, 31, v4
	v_mov_b32_e32 v12, v4
	v_cmp_eq_u32_e32 vcc, 0, v8
	v_ashrrev_i32_e32 v11, 31, v5
	v_mov_b32_e32 v10, v5
	v_add_u32_e32 v5, s12, v5
	v_add_u32_e32 v4, s9, v4
	v_lshl_add_u64 v[12:13], v[12:13], 2, s[10:11]
	s_or_b64 s[2:3], vcc, s[2:3]
	v_pk_fma_f32 v[14:15], s[6:7], v[14:15], v[0:1]
	v_lshl_add_u64 v[10:11], v[10:11], 2, s[10:11]
	global_store_dword v[12:13], v14, off
	global_store_dword v[10:11], v15, off
	s_andn2_b64 exec, exec, s[2:3]
	s_cbranch_execnz .LBB74_3
; %bb.4:
	s_or_b64 exec, exec, s[2:3]
	v_mad_u64_u32 v[2:3], s[2:3], v7, s8, v[2:3]
	v_cmp_ne_u32_e32 vcc, v6, v7
	s_orn2_b64 s[2:3], vcc, exec
.LBB74_5:
	s_or_b64 exec, exec, s[0:1]
	s_and_b64 exec, exec, s[2:3]
	s_cbranch_execz .LBB74_8
; %bb.6:
	v_ashrrev_i32_e32 v3, 31, v2
	s_ashr_i32 s9, s8, 31
	v_lshl_add_u64 v[0:1], v[2:3], 2, s[10:11]
	s_lshl_b64 s[0:1], s[8:9], 2
	s_mov_b64 s[2:3], 0
	v_mov_b32_e32 v3, s5
.LBB74_7:                               ; =>This Inner Loop Header: Depth=1
	v_cvt_f32_i32_e32 v4, v2
	v_add_u32_e32 v2, s8, v2
	v_cmp_le_i32_e32 vcc, s4, v2
	s_or_b64 s[2:3], vcc, s[2:3]
	v_fma_f32 v4, s6, v4, v3
	global_store_dword v[0:1], v4, off
	v_lshl_add_u64 v[0:1], v[0:1], 0, s[0:1]
	s_andn2_b64 exec, exec, s[2:3]
	s_cbranch_execnz .LBB74_7
.LBB74_8:
	s_endpgm
	.section	.rodata,"a",@progbits
	.p2align	6, 0x0
	.amdhsa_kernel _ZN12_GLOBAL__N_141elementwise_kernel_with_index_grid_strideIiZZZN2at6native15arange_cuda_outERKN3c106ScalarES6_S6_RNS1_6TensorEENKUlvE_clEvENKUlvE5_clEvEUllE_EEvT_T0_PN15function_traitsISD_E11result_typeE
		.amdhsa_group_segment_fixed_size 0
		.amdhsa_private_segment_fixed_size 0
		.amdhsa_kernarg_size 280
		.amdhsa_user_sgpr_count 2
		.amdhsa_user_sgpr_dispatch_ptr 0
		.amdhsa_user_sgpr_queue_ptr 0
		.amdhsa_user_sgpr_kernarg_segment_ptr 1
		.amdhsa_user_sgpr_dispatch_id 0
		.amdhsa_user_sgpr_kernarg_preload_length 0
		.amdhsa_user_sgpr_kernarg_preload_offset 0
		.amdhsa_user_sgpr_private_segment_size 0
		.amdhsa_uses_dynamic_stack 0
		.amdhsa_enable_private_segment 0
		.amdhsa_system_sgpr_workgroup_id_x 1
		.amdhsa_system_sgpr_workgroup_id_y 0
		.amdhsa_system_sgpr_workgroup_id_z 0
		.amdhsa_system_sgpr_workgroup_info 0
		.amdhsa_system_vgpr_workitem_id 0
		.amdhsa_next_free_vgpr 16
		.amdhsa_next_free_sgpr 16
		.amdhsa_accum_offset 16
		.amdhsa_reserve_vcc 1
		.amdhsa_float_round_mode_32 0
		.amdhsa_float_round_mode_16_64 0
		.amdhsa_float_denorm_mode_32 3
		.amdhsa_float_denorm_mode_16_64 3
		.amdhsa_dx10_clamp 1
		.amdhsa_ieee_mode 1
		.amdhsa_fp16_overflow 0
		.amdhsa_tg_split 0
		.amdhsa_exception_fp_ieee_invalid_op 0
		.amdhsa_exception_fp_denorm_src 0
		.amdhsa_exception_fp_ieee_div_zero 0
		.amdhsa_exception_fp_ieee_overflow 0
		.amdhsa_exception_fp_ieee_underflow 0
		.amdhsa_exception_fp_ieee_inexact 0
		.amdhsa_exception_int_div_zero 0
	.end_amdhsa_kernel
	.section	.text._ZN12_GLOBAL__N_141elementwise_kernel_with_index_grid_strideIiZZZN2at6native15arange_cuda_outERKN3c106ScalarES6_S6_RNS1_6TensorEENKUlvE_clEvENKUlvE5_clEvEUllE_EEvT_T0_PN15function_traitsISD_E11result_typeE,"axG",@progbits,_ZN12_GLOBAL__N_141elementwise_kernel_with_index_grid_strideIiZZZN2at6native15arange_cuda_outERKN3c106ScalarES6_S6_RNS1_6TensorEENKUlvE_clEvENKUlvE5_clEvEUllE_EEvT_T0_PN15function_traitsISD_E11result_typeE,comdat
.Lfunc_end74:
	.size	_ZN12_GLOBAL__N_141elementwise_kernel_with_index_grid_strideIiZZZN2at6native15arange_cuda_outERKN3c106ScalarES6_S6_RNS1_6TensorEENKUlvE_clEvENKUlvE5_clEvEUllE_EEvT_T0_PN15function_traitsISD_E11result_typeE, .Lfunc_end74-_ZN12_GLOBAL__N_141elementwise_kernel_with_index_grid_strideIiZZZN2at6native15arange_cuda_outERKN3c106ScalarES6_S6_RNS1_6TensorEENKUlvE_clEvENKUlvE5_clEvEUllE_EEvT_T0_PN15function_traitsISD_E11result_typeE
                                        ; -- End function
	.set _ZN12_GLOBAL__N_141elementwise_kernel_with_index_grid_strideIiZZZN2at6native15arange_cuda_outERKN3c106ScalarES6_S6_RNS1_6TensorEENKUlvE_clEvENKUlvE5_clEvEUllE_EEvT_T0_PN15function_traitsISD_E11result_typeE.num_vgpr, 16
	.set _ZN12_GLOBAL__N_141elementwise_kernel_with_index_grid_strideIiZZZN2at6native15arange_cuda_outERKN3c106ScalarES6_S6_RNS1_6TensorEENKUlvE_clEvENKUlvE5_clEvEUllE_EEvT_T0_PN15function_traitsISD_E11result_typeE.num_agpr, 0
	.set _ZN12_GLOBAL__N_141elementwise_kernel_with_index_grid_strideIiZZZN2at6native15arange_cuda_outERKN3c106ScalarES6_S6_RNS1_6TensorEENKUlvE_clEvENKUlvE5_clEvEUllE_EEvT_T0_PN15function_traitsISD_E11result_typeE.numbered_sgpr, 16
	.set _ZN12_GLOBAL__N_141elementwise_kernel_with_index_grid_strideIiZZZN2at6native15arange_cuda_outERKN3c106ScalarES6_S6_RNS1_6TensorEENKUlvE_clEvENKUlvE5_clEvEUllE_EEvT_T0_PN15function_traitsISD_E11result_typeE.num_named_barrier, 0
	.set _ZN12_GLOBAL__N_141elementwise_kernel_with_index_grid_strideIiZZZN2at6native15arange_cuda_outERKN3c106ScalarES6_S6_RNS1_6TensorEENKUlvE_clEvENKUlvE5_clEvEUllE_EEvT_T0_PN15function_traitsISD_E11result_typeE.private_seg_size, 0
	.set _ZN12_GLOBAL__N_141elementwise_kernel_with_index_grid_strideIiZZZN2at6native15arange_cuda_outERKN3c106ScalarES6_S6_RNS1_6TensorEENKUlvE_clEvENKUlvE5_clEvEUllE_EEvT_T0_PN15function_traitsISD_E11result_typeE.uses_vcc, 1
	.set _ZN12_GLOBAL__N_141elementwise_kernel_with_index_grid_strideIiZZZN2at6native15arange_cuda_outERKN3c106ScalarES6_S6_RNS1_6TensorEENKUlvE_clEvENKUlvE5_clEvEUllE_EEvT_T0_PN15function_traitsISD_E11result_typeE.uses_flat_scratch, 0
	.set _ZN12_GLOBAL__N_141elementwise_kernel_with_index_grid_strideIiZZZN2at6native15arange_cuda_outERKN3c106ScalarES6_S6_RNS1_6TensorEENKUlvE_clEvENKUlvE5_clEvEUllE_EEvT_T0_PN15function_traitsISD_E11result_typeE.has_dyn_sized_stack, 0
	.set _ZN12_GLOBAL__N_141elementwise_kernel_with_index_grid_strideIiZZZN2at6native15arange_cuda_outERKN3c106ScalarES6_S6_RNS1_6TensorEENKUlvE_clEvENKUlvE5_clEvEUllE_EEvT_T0_PN15function_traitsISD_E11result_typeE.has_recursion, 0
	.set _ZN12_GLOBAL__N_141elementwise_kernel_with_index_grid_strideIiZZZN2at6native15arange_cuda_outERKN3c106ScalarES6_S6_RNS1_6TensorEENKUlvE_clEvENKUlvE5_clEvEUllE_EEvT_T0_PN15function_traitsISD_E11result_typeE.has_indirect_call, 0
	.section	.AMDGPU.csdata,"",@progbits
; Kernel info:
; codeLenInByte = 508
; TotalNumSgprs: 22
; NumVgprs: 16
; NumAgprs: 0
; TotalNumVgprs: 16
; ScratchSize: 0
; MemoryBound: 0
; FloatMode: 240
; IeeeMode: 1
; LDSByteSize: 0 bytes/workgroup (compile time only)
; SGPRBlocks: 2
; VGPRBlocks: 1
; NumSGPRsForWavesPerEU: 22
; NumVGPRsForWavesPerEU: 16
; AccumOffset: 16
; Occupancy: 8
; WaveLimiterHint : 0
; COMPUTE_PGM_RSRC2:SCRATCH_EN: 0
; COMPUTE_PGM_RSRC2:USER_SGPR: 2
; COMPUTE_PGM_RSRC2:TRAP_HANDLER: 0
; COMPUTE_PGM_RSRC2:TGID_X_EN: 1
; COMPUTE_PGM_RSRC2:TGID_Y_EN: 0
; COMPUTE_PGM_RSRC2:TGID_Z_EN: 0
; COMPUTE_PGM_RSRC2:TIDIG_COMP_CNT: 0
; COMPUTE_PGM_RSRC3_GFX90A:ACCUM_OFFSET: 3
; COMPUTE_PGM_RSRC3_GFX90A:TG_SPLIT: 0
	.section	.text._ZN12_GLOBAL__N_141elementwise_kernel_with_index_grid_strideIlZZZN2at6native15arange_cuda_outERKN3c106ScalarES6_S6_RNS1_6TensorEENKUlvE_clEvENKUlvE5_clEvEUllE_EEvT_T0_PN15function_traitsISD_E11result_typeE,"axG",@progbits,_ZN12_GLOBAL__N_141elementwise_kernel_with_index_grid_strideIlZZZN2at6native15arange_cuda_outERKN3c106ScalarES6_S6_RNS1_6TensorEENKUlvE_clEvENKUlvE5_clEvEUllE_EEvT_T0_PN15function_traitsISD_E11result_typeE,comdat
	.globl	_ZN12_GLOBAL__N_141elementwise_kernel_with_index_grid_strideIlZZZN2at6native15arange_cuda_outERKN3c106ScalarES6_S6_RNS1_6TensorEENKUlvE_clEvENKUlvE5_clEvEUllE_EEvT_T0_PN15function_traitsISD_E11result_typeE ; -- Begin function _ZN12_GLOBAL__N_141elementwise_kernel_with_index_grid_strideIlZZZN2at6native15arange_cuda_outERKN3c106ScalarES6_S6_RNS1_6TensorEENKUlvE_clEvENKUlvE5_clEvEUllE_EEvT_T0_PN15function_traitsISD_E11result_typeE
	.p2align	8
	.type	_ZN12_GLOBAL__N_141elementwise_kernel_with_index_grid_strideIlZZZN2at6native15arange_cuda_outERKN3c106ScalarES6_S6_RNS1_6TensorEENKUlvE_clEvENKUlvE5_clEvEUllE_EEvT_T0_PN15function_traitsISD_E11result_typeE,@function
_ZN12_GLOBAL__N_141elementwise_kernel_with_index_grid_strideIlZZZN2at6native15arange_cuda_outERKN3c106ScalarES6_S6_RNS1_6TensorEENKUlvE_clEvENKUlvE5_clEvEUllE_EEvT_T0_PN15function_traitsISD_E11result_typeE: ; @_ZN12_GLOBAL__N_141elementwise_kernel_with_index_grid_strideIlZZZN2at6native15arange_cuda_outERKN3c106ScalarES6_S6_RNS1_6TensorEENKUlvE_clEvENKUlvE5_clEvEUllE_EEvT_T0_PN15function_traitsISD_E11result_typeE
; %bb.0:
	s_load_dword s3, s[0:1], 0x24
	s_load_dwordx2 s[4:5], s[0:1], 0x0
	s_add_u32 s6, s0, 24
	s_addc_u32 s7, s1, 0
	v_mov_b32_e32 v1, 0
	s_waitcnt lgkmcnt(0)
	s_and_b32 s3, s3, 0xffff
	v_mov_b32_e32 v2, s2
	v_mad_u64_u32 v[2:3], s[8:9], s3, v2, v[0:1]
	v_cmp_gt_i64_e32 vcc, s[4:5], v[2:3]
	s_and_saveexec_b64 s[8:9], vcc
	s_cbranch_execz .LBB75_14
; %bb.1:
	s_load_dword s10, s[6:7], 0x0
	v_mov_b32_e32 v4, s3
	s_mov_b32 s11, 0
	v_mov_b32_e32 v5, s11
	s_load_dwordx2 s[6:7], s[0:1], 0x8
	s_waitcnt lgkmcnt(0)
	s_add_u32 s2, s2, s10
	s_mul_hi_u32 s9, s3, s10
	s_mul_i32 s8, s3, s10
	s_addc_u32 s10, 0, 0
	s_mul_i32 s10, s10, s3
	v_mad_u64_u32 v[6:7], s[2:3], s2, v4, v[0:1]
	v_add_u32_e32 v7, s10, v7
	v_cmp_gt_i64_e32 vcc, s[4:5], v[6:7]
	v_mov_b32_e32 v4, s4
	v_mov_b32_e32 v0, s5
	v_cndmask_b32_e32 v8, v6, v4, vcc
	v_cndmask_b32_e64 v4, 0, 1, vcc
	v_cndmask_b32_e32 v0, v7, v0, vcc
	v_lshl_add_u64 v[6:7], v[6:7], 0, v[4:5]
	v_sub_co_u32_e32 v6, vcc, v8, v6
	v_mov_b32_e32 v8, v1
	s_nop 0
	v_subb_co_u32_e32 v7, vcc, v0, v7, vcc
	v_or_b32_e32 v9, s9, v7
	v_cmp_ne_u64_e32 vcc, 0, v[8:9]
                                        ; implicit-def: $vgpr0_vgpr1
	s_and_saveexec_b64 s[2:3], vcc
	s_xor_b64 s[10:11], exec, s[2:3]
	s_cbranch_execz .LBB75_3
; %bb.2:
	v_cvt_f32_u32_e32 v0, s8
	v_cvt_f32_u32_e32 v1, s9
	s_sub_u32 s12, 0, s8
	s_subb_u32 s13, 0, s9
	v_mov_b32_e32 v9, 0
	v_fmamk_f32 v0, v1, 0x4f800000, v0
	v_rcp_f32_e32 v0, v0
	s_nop 0
	v_mul_f32_e32 v0, 0x5f7ffffc, v0
	v_mul_f32_e32 v1, 0x2f800000, v0
	v_trunc_f32_e32 v1, v1
	v_fmamk_f32 v0, v1, 0xcf800000, v0
	v_cvt_u32_f32_e32 v1, v1
	v_cvt_u32_f32_e32 v0, v0
	v_readfirstlane_b32 s14, v1
	v_readfirstlane_b32 s2, v0
	s_mul_i32 s3, s12, s14
	s_mul_hi_u32 s16, s12, s2
	s_mul_i32 s15, s13, s2
	s_add_i32 s3, s16, s3
	s_mul_i32 s17, s12, s2
	s_add_i32 s3, s3, s15
	s_mul_i32 s16, s2, s3
	s_mul_hi_u32 s18, s2, s17
	s_mul_hi_u32 s15, s2, s3
	s_add_u32 s16, s18, s16
	s_addc_u32 s15, 0, s15
	s_mul_hi_u32 s19, s14, s17
	s_mul_i32 s17, s14, s17
	s_add_u32 s16, s16, s17
	s_mul_hi_u32 s18, s14, s3
	s_addc_u32 s15, s15, s19
	s_addc_u32 s16, s18, 0
	s_mul_i32 s3, s14, s3
	s_add_u32 s3, s15, s3
	s_addc_u32 s15, 0, s16
	s_add_u32 s16, s2, s3
	s_cselect_b64 s[2:3], -1, 0
	s_cmp_lg_u64 s[2:3], 0
	s_addc_u32 s14, s14, s15
	s_mul_i32 s2, s12, s14
	s_mul_hi_u32 s3, s12, s16
	s_add_i32 s2, s3, s2
	s_mul_i32 s13, s13, s16
	s_add_i32 s2, s2, s13
	s_mul_i32 s12, s12, s16
	s_mul_hi_u32 s13, s14, s12
	s_mul_i32 s15, s14, s12
	s_mul_i32 s18, s16, s2
	s_mul_hi_u32 s12, s16, s12
	s_mul_hi_u32 s17, s16, s2
	s_add_u32 s12, s12, s18
	s_addc_u32 s17, 0, s17
	s_add_u32 s12, s12, s15
	s_mul_hi_u32 s3, s14, s2
	s_addc_u32 s12, s17, s13
	s_addc_u32 s3, s3, 0
	s_mul_i32 s2, s14, s2
	s_add_u32 s2, s12, s2
	s_addc_u32 s12, 0, s3
	s_add_u32 s13, s16, s2
	s_cselect_b64 s[2:3], -1, 0
	s_cmp_lg_u64 s[2:3], 0
	s_addc_u32 s12, s14, s12
	v_mad_u64_u32 v[0:1], s[2:3], v6, s12, 0
	v_mul_hi_u32 v8, v6, s13
	v_lshl_add_u64 v[0:1], v[8:9], 0, v[0:1]
	v_mad_u64_u32 v[12:13], s[2:3], v7, s13, 0
	v_add_co_u32_e32 v0, vcc, v0, v12
	v_mad_u64_u32 v[10:11], s[2:3], v7, s12, 0
	s_nop 0
	v_addc_co_u32_e32 v8, vcc, v1, v13, vcc
	s_nop 1
	v_addc_co_u32_e32 v11, vcc, 0, v11, vcc
	v_lshl_add_u64 v[0:1], v[8:9], 0, v[10:11]
	v_mul_lo_u32 v10, s9, v0
	v_mul_lo_u32 v11, s8, v1
	v_mad_u64_u32 v[8:9], s[2:3], s8, v0, 0
	v_add3_u32 v12, v9, v11, v10
	v_sub_u32_e32 v9, v7, v12
	v_mov_b32_e32 v10, s9
	v_sub_co_u32_e32 v6, vcc, v6, v8
	s_nop 1
	v_subb_co_u32_e64 v8, s[2:3], v9, v10, vcc
	v_subrev_co_u32_e64 v9, s[2:3], s8, v6
	v_subb_co_u32_e32 v7, vcc, v7, v12, vcc
	s_nop 0
	v_subbrev_co_u32_e64 v8, s[2:3], 0, v8, s[2:3]
	v_cmp_le_u32_e64 s[2:3], s9, v8
	v_cmp_le_u32_e32 vcc, s9, v7
	s_nop 0
	v_cndmask_b32_e64 v10, 0, -1, s[2:3]
	v_cmp_le_u32_e64 s[2:3], s8, v9
	s_nop 1
	v_cndmask_b32_e64 v9, 0, -1, s[2:3]
	v_cmp_eq_u32_e64 s[2:3], s9, v8
	s_nop 1
	v_cndmask_b32_e64 v13, v10, v9, s[2:3]
	v_lshl_add_u64 v[8:9], v[0:1], 0, 2
	v_lshl_add_u64 v[10:11], v[0:1], 0, 1
	v_cmp_ne_u32_e64 s[2:3], 0, v13
	s_nop 1
	v_cndmask_b32_e64 v9, v11, v9, s[2:3]
	v_cndmask_b32_e64 v11, 0, -1, vcc
	v_cmp_le_u32_e32 vcc, s8, v6
	s_nop 1
	v_cndmask_b32_e64 v6, 0, -1, vcc
	v_cmp_eq_u32_e32 vcc, s9, v7
	s_nop 1
	v_cndmask_b32_e32 v6, v11, v6, vcc
	v_cmp_ne_u32_e32 vcc, 0, v6
	v_cndmask_b32_e64 v6, v10, v8, s[2:3]
	s_nop 0
	v_cndmask_b32_e32 v1, v1, v9, vcc
	v_cndmask_b32_e32 v0, v0, v6, vcc
                                        ; implicit-def: $vgpr6
.LBB75_3:
	s_andn2_saveexec_b64 s[2:3], s[10:11]
	s_cbranch_execz .LBB75_5
; %bb.4:
	v_cvt_f32_u32_e32 v0, s8
	s_sub_i32 s10, 0, s8
	v_rcp_iflag_f32_e32 v0, v0
	s_nop 0
	v_mul_f32_e32 v0, 0x4f7ffffe, v0
	v_cvt_u32_f32_e32 v0, v0
	v_mul_lo_u32 v1, s10, v0
	v_mul_hi_u32 v1, v0, v1
	v_add_u32_e32 v0, v0, v1
	v_mul_hi_u32 v0, v6, v0
	v_mul_lo_u32 v1, v0, s8
	v_sub_u32_e32 v1, v6, v1
	v_add_u32_e32 v7, 1, v0
	v_subrev_u32_e32 v6, s8, v1
	v_cmp_le_u32_e32 vcc, s8, v1
	s_nop 1
	v_cndmask_b32_e32 v1, v1, v6, vcc
	v_cndmask_b32_e32 v0, v0, v7, vcc
	v_add_u32_e32 v6, 1, v0
	v_cmp_le_u32_e32 vcc, s8, v1
	v_mov_b32_e32 v1, 0
	s_nop 0
	v_cndmask_b32_e32 v0, v0, v6, vcc
.LBB75_5:
	s_or_b64 exec, exec, s[2:3]
	s_load_dwordx2 s[0:1], s[0:1], 0x10
	v_lshl_add_u64 v[0:1], v[0:1], 0, v[4:5]
	v_lshl_add_u64 v[0:1], v[0:1], 0, 1
	v_cmp_lt_u64_e32 vcc, 1, v[0:1]
	s_mov_b64 s[10:11], 0
                                        ; implicit-def: $vgpr4_vgpr5
	s_and_saveexec_b64 s[2:3], vcc
	s_xor_b64 s[2:3], exec, s[2:3]
	s_cbranch_execnz .LBB75_8
; %bb.6:
	s_andn2_saveexec_b64 s[2:3], s[2:3]
	s_cbranch_execnz .LBB75_11
.LBB75_7:
	s_or_b64 exec, exec, s[2:3]
	s_and_b64 exec, exec, s[10:11]
	s_cbranch_execnz .LBB75_12
	s_branch .LBB75_14
.LBB75_8:
	v_lshl_add_u64 v[4:5], v[2:3], 0, s[8:9]
	v_and_b32_e32 v8, -2, v0
	v_mov_b32_e32 v9, v1
	s_mov_b32 s22, s6
	s_mov_b32 s23, s6
	s_lshl_b64 s[14:15], s[8:9], 1
	v_mov_b64_e32 v[6:7], v[4:5]
	s_mov_b32 s10, s7
	s_mov_b32 s11, s7
	;; [unrolled: 1-line block ×4, first 2 shown]
	s_lshl_b64 s[12:13], s[8:9], 2
	s_waitcnt lgkmcnt(0)
	v_lshl_add_u64 v[10:11], v[2:3], 2, s[0:1]
	s_lshl_b64 s[20:21], s[8:9], 3
	s_mov_b64 s[18:19], 0
	v_mov_b64_e32 v[12:13], s[22:23]
	v_mov_b64_e32 v[14:15], v[8:9]
	;; [unrolled: 1-line block ×3, first 2 shown]
.LBB75_9:                               ; =>This Inner Loop Header: Depth=1
	v_ffbh_u32_e32 v18, v7
	v_ffbh_u32_e32 v19, v5
	v_min_u32_e32 v20, 32, v18
	v_min_u32_e32 v22, 32, v19
	v_lshlrev_b64 v[18:19], v20, v[6:7]
	v_sub_u32_e32 v23, 32, v20
	v_lshlrev_b64 v[20:21], v22, v[4:5]
	v_min_u32_e32 v18, 1, v18
	v_min_u32_e32 v20, 1, v20
	v_or_b32_e32 v18, v19, v18
	v_or_b32_e32 v19, v21, v20
	v_cvt_f32_u32_e32 v18, v18
	v_cvt_f32_u32_e32 v20, v19
	v_sub_u32_e32 v22, 32, v22
	v_lshl_add_u64 v[14:15], v[14:15], 0, -2
	v_ldexp_f32 v19, v18, v23
	v_ldexp_f32 v18, v20, v22
	v_cmp_eq_u64_e32 vcc, 0, v[14:15]
	v_pk_fma_f32 v[18:19], s[10:11], v[18:19], v[12:13]
	v_lshl_add_u64 v[16:17], v[10:11], 0, s[12:13]
	v_lshl_add_u64 v[6:7], v[6:7], 0, s[16:17]
	;; [unrolled: 1-line block ×3, first 2 shown]
	s_or_b64 s[18:19], vcc, s[18:19]
	global_store_dword v[10:11], v18, off
	global_store_dword v[16:17], v19, off
	v_lshl_add_u64 v[10:11], v[10:11], 0, s[20:21]
	s_andn2_b64 exec, exec, s[18:19]
	s_cbranch_execnz .LBB75_9
; %bb.10:
	s_or_b64 exec, exec, s[18:19]
	v_mad_u64_u32 v[2:3], s[10:11], v8, s8, v[2:3]
	v_mul_lo_u32 v4, v8, s9
	v_mul_lo_u32 v5, v9, s8
	v_cmp_ne_u64_e32 vcc, v[0:1], v[8:9]
	v_add3_u32 v3, v5, v3, v4
	v_mov_b64_e32 v[4:5], s[12:13]
	s_and_b64 s[10:11], vcc, exec
	s_andn2_saveexec_b64 s[2:3], s[2:3]
	s_cbranch_execz .LBB75_7
.LBB75_11:
	s_lshl_b64 s[12:13], s[8:9], 2
	v_mov_b64_e32 v[4:5], s[12:13]
	s_or_b64 s[10:11], s[10:11], exec
	s_or_b64 exec, exec, s[2:3]
	s_and_b64 exec, exec, s[10:11]
	s_cbranch_execz .LBB75_14
.LBB75_12:
	s_waitcnt lgkmcnt(0)
	v_lshl_add_u64 v[0:1], v[2:3], 2, s[0:1]
	s_mov_b64 s[0:1], 0
	v_mov_b32_e32 v6, s6
.LBB75_13:                              ; =>This Inner Loop Header: Depth=1
	v_ffbh_u32_e32 v7, v3
	v_min_u32_e32 v7, 32, v7
	v_lshlrev_b64 v[8:9], v7, v[2:3]
	v_min_u32_e32 v8, 1, v8
	v_or_b32_e32 v8, v9, v8
	v_cvt_f32_u32_e32 v8, v8
	v_sub_u32_e32 v7, 32, v7
	v_lshl_add_u64 v[2:3], v[2:3], 0, s[8:9]
	v_cmp_le_i64_e32 vcc, s[4:5], v[2:3]
	v_ldexp_f32 v7, v8, v7
	v_fma_f32 v7, s7, v7, v6
	s_or_b64 s[0:1], vcc, s[0:1]
	global_store_dword v[0:1], v7, off
	v_lshl_add_u64 v[0:1], v[0:1], 0, v[4:5]
	s_andn2_b64 exec, exec, s[0:1]
	s_cbranch_execnz .LBB75_13
.LBB75_14:
	s_endpgm
	.section	.rodata,"a",@progbits
	.p2align	6, 0x0
	.amdhsa_kernel _ZN12_GLOBAL__N_141elementwise_kernel_with_index_grid_strideIlZZZN2at6native15arange_cuda_outERKN3c106ScalarES6_S6_RNS1_6TensorEENKUlvE_clEvENKUlvE5_clEvEUllE_EEvT_T0_PN15function_traitsISD_E11result_typeE
		.amdhsa_group_segment_fixed_size 0
		.amdhsa_private_segment_fixed_size 0
		.amdhsa_kernarg_size 280
		.amdhsa_user_sgpr_count 2
		.amdhsa_user_sgpr_dispatch_ptr 0
		.amdhsa_user_sgpr_queue_ptr 0
		.amdhsa_user_sgpr_kernarg_segment_ptr 1
		.amdhsa_user_sgpr_dispatch_id 0
		.amdhsa_user_sgpr_kernarg_preload_length 0
		.amdhsa_user_sgpr_kernarg_preload_offset 0
		.amdhsa_user_sgpr_private_segment_size 0
		.amdhsa_uses_dynamic_stack 0
		.amdhsa_enable_private_segment 0
		.amdhsa_system_sgpr_workgroup_id_x 1
		.amdhsa_system_sgpr_workgroup_id_y 0
		.amdhsa_system_sgpr_workgroup_id_z 0
		.amdhsa_system_sgpr_workgroup_info 0
		.amdhsa_system_vgpr_workitem_id 0
		.amdhsa_next_free_vgpr 24
		.amdhsa_next_free_sgpr 24
		.amdhsa_accum_offset 24
		.amdhsa_reserve_vcc 1
		.amdhsa_float_round_mode_32 0
		.amdhsa_float_round_mode_16_64 0
		.amdhsa_float_denorm_mode_32 3
		.amdhsa_float_denorm_mode_16_64 3
		.amdhsa_dx10_clamp 1
		.amdhsa_ieee_mode 1
		.amdhsa_fp16_overflow 0
		.amdhsa_tg_split 0
		.amdhsa_exception_fp_ieee_invalid_op 0
		.amdhsa_exception_fp_denorm_src 0
		.amdhsa_exception_fp_ieee_div_zero 0
		.amdhsa_exception_fp_ieee_overflow 0
		.amdhsa_exception_fp_ieee_underflow 0
		.amdhsa_exception_fp_ieee_inexact 0
		.amdhsa_exception_int_div_zero 0
	.end_amdhsa_kernel
	.section	.text._ZN12_GLOBAL__N_141elementwise_kernel_with_index_grid_strideIlZZZN2at6native15arange_cuda_outERKN3c106ScalarES6_S6_RNS1_6TensorEENKUlvE_clEvENKUlvE5_clEvEUllE_EEvT_T0_PN15function_traitsISD_E11result_typeE,"axG",@progbits,_ZN12_GLOBAL__N_141elementwise_kernel_with_index_grid_strideIlZZZN2at6native15arange_cuda_outERKN3c106ScalarES6_S6_RNS1_6TensorEENKUlvE_clEvENKUlvE5_clEvEUllE_EEvT_T0_PN15function_traitsISD_E11result_typeE,comdat
.Lfunc_end75:
	.size	_ZN12_GLOBAL__N_141elementwise_kernel_with_index_grid_strideIlZZZN2at6native15arange_cuda_outERKN3c106ScalarES6_S6_RNS1_6TensorEENKUlvE_clEvENKUlvE5_clEvEUllE_EEvT_T0_PN15function_traitsISD_E11result_typeE, .Lfunc_end75-_ZN12_GLOBAL__N_141elementwise_kernel_with_index_grid_strideIlZZZN2at6native15arange_cuda_outERKN3c106ScalarES6_S6_RNS1_6TensorEENKUlvE_clEvENKUlvE5_clEvEUllE_EEvT_T0_PN15function_traitsISD_E11result_typeE
                                        ; -- End function
	.set _ZN12_GLOBAL__N_141elementwise_kernel_with_index_grid_strideIlZZZN2at6native15arange_cuda_outERKN3c106ScalarES6_S6_RNS1_6TensorEENKUlvE_clEvENKUlvE5_clEvEUllE_EEvT_T0_PN15function_traitsISD_E11result_typeE.num_vgpr, 24
	.set _ZN12_GLOBAL__N_141elementwise_kernel_with_index_grid_strideIlZZZN2at6native15arange_cuda_outERKN3c106ScalarES6_S6_RNS1_6TensorEENKUlvE_clEvENKUlvE5_clEvEUllE_EEvT_T0_PN15function_traitsISD_E11result_typeE.num_agpr, 0
	.set _ZN12_GLOBAL__N_141elementwise_kernel_with_index_grid_strideIlZZZN2at6native15arange_cuda_outERKN3c106ScalarES6_S6_RNS1_6TensorEENKUlvE_clEvENKUlvE5_clEvEUllE_EEvT_T0_PN15function_traitsISD_E11result_typeE.numbered_sgpr, 24
	.set _ZN12_GLOBAL__N_141elementwise_kernel_with_index_grid_strideIlZZZN2at6native15arange_cuda_outERKN3c106ScalarES6_S6_RNS1_6TensorEENKUlvE_clEvENKUlvE5_clEvEUllE_EEvT_T0_PN15function_traitsISD_E11result_typeE.num_named_barrier, 0
	.set _ZN12_GLOBAL__N_141elementwise_kernel_with_index_grid_strideIlZZZN2at6native15arange_cuda_outERKN3c106ScalarES6_S6_RNS1_6TensorEENKUlvE_clEvENKUlvE5_clEvEUllE_EEvT_T0_PN15function_traitsISD_E11result_typeE.private_seg_size, 0
	.set _ZN12_GLOBAL__N_141elementwise_kernel_with_index_grid_strideIlZZZN2at6native15arange_cuda_outERKN3c106ScalarES6_S6_RNS1_6TensorEENKUlvE_clEvENKUlvE5_clEvEUllE_EEvT_T0_PN15function_traitsISD_E11result_typeE.uses_vcc, 1
	.set _ZN12_GLOBAL__N_141elementwise_kernel_with_index_grid_strideIlZZZN2at6native15arange_cuda_outERKN3c106ScalarES6_S6_RNS1_6TensorEENKUlvE_clEvENKUlvE5_clEvEUllE_EEvT_T0_PN15function_traitsISD_E11result_typeE.uses_flat_scratch, 0
	.set _ZN12_GLOBAL__N_141elementwise_kernel_with_index_grid_strideIlZZZN2at6native15arange_cuda_outERKN3c106ScalarES6_S6_RNS1_6TensorEENKUlvE_clEvENKUlvE5_clEvEUllE_EEvT_T0_PN15function_traitsISD_E11result_typeE.has_dyn_sized_stack, 0
	.set _ZN12_GLOBAL__N_141elementwise_kernel_with_index_grid_strideIlZZZN2at6native15arange_cuda_outERKN3c106ScalarES6_S6_RNS1_6TensorEENKUlvE_clEvENKUlvE5_clEvEUllE_EEvT_T0_PN15function_traitsISD_E11result_typeE.has_recursion, 0
	.set _ZN12_GLOBAL__N_141elementwise_kernel_with_index_grid_strideIlZZZN2at6native15arange_cuda_outERKN3c106ScalarES6_S6_RNS1_6TensorEENKUlvE_clEvENKUlvE5_clEvEUllE_EEvT_T0_PN15function_traitsISD_E11result_typeE.has_indirect_call, 0
	.section	.AMDGPU.csdata,"",@progbits
; Kernel info:
; codeLenInByte = 1408
; TotalNumSgprs: 30
; NumVgprs: 24
; NumAgprs: 0
; TotalNumVgprs: 24
; ScratchSize: 0
; MemoryBound: 0
; FloatMode: 240
; IeeeMode: 1
; LDSByteSize: 0 bytes/workgroup (compile time only)
; SGPRBlocks: 3
; VGPRBlocks: 2
; NumSGPRsForWavesPerEU: 30
; NumVGPRsForWavesPerEU: 24
; AccumOffset: 24
; Occupancy: 8
; WaveLimiterHint : 0
; COMPUTE_PGM_RSRC2:SCRATCH_EN: 0
; COMPUTE_PGM_RSRC2:USER_SGPR: 2
; COMPUTE_PGM_RSRC2:TRAP_HANDLER: 0
; COMPUTE_PGM_RSRC2:TGID_X_EN: 1
; COMPUTE_PGM_RSRC2:TGID_Y_EN: 0
; COMPUTE_PGM_RSRC2:TGID_Z_EN: 0
; COMPUTE_PGM_RSRC2:TIDIG_COMP_CNT: 0
; COMPUTE_PGM_RSRC3_GFX90A:ACCUM_OFFSET: 5
; COMPUTE_PGM_RSRC3_GFX90A:TG_SPLIT: 0
	.section	.text._ZN12_GLOBAL__N_141elementwise_kernel_with_index_grid_strideIiZZZN2at6native15arange_cuda_outERKN3c106ScalarES6_S6_RNS1_6TensorEENKUlvE_clEvENKUlvE6_clEvEUllE_EEvT_T0_PN15function_traitsISD_E11result_typeE,"axG",@progbits,_ZN12_GLOBAL__N_141elementwise_kernel_with_index_grid_strideIiZZZN2at6native15arange_cuda_outERKN3c106ScalarES6_S6_RNS1_6TensorEENKUlvE_clEvENKUlvE6_clEvEUllE_EEvT_T0_PN15function_traitsISD_E11result_typeE,comdat
	.globl	_ZN12_GLOBAL__N_141elementwise_kernel_with_index_grid_strideIiZZZN2at6native15arange_cuda_outERKN3c106ScalarES6_S6_RNS1_6TensorEENKUlvE_clEvENKUlvE6_clEvEUllE_EEvT_T0_PN15function_traitsISD_E11result_typeE ; -- Begin function _ZN12_GLOBAL__N_141elementwise_kernel_with_index_grid_strideIiZZZN2at6native15arange_cuda_outERKN3c106ScalarES6_S6_RNS1_6TensorEENKUlvE_clEvENKUlvE6_clEvEUllE_EEvT_T0_PN15function_traitsISD_E11result_typeE
	.p2align	8
	.type	_ZN12_GLOBAL__N_141elementwise_kernel_with_index_grid_strideIiZZZN2at6native15arange_cuda_outERKN3c106ScalarES6_S6_RNS1_6TensorEENKUlvE_clEvENKUlvE6_clEvEUllE_EEvT_T0_PN15function_traitsISD_E11result_typeE,@function
_ZN12_GLOBAL__N_141elementwise_kernel_with_index_grid_strideIiZZZN2at6native15arange_cuda_outERKN3c106ScalarES6_S6_RNS1_6TensorEENKUlvE_clEvENKUlvE6_clEvEUllE_EEvT_T0_PN15function_traitsISD_E11result_typeE: ; @_ZN12_GLOBAL__N_141elementwise_kernel_with_index_grid_strideIiZZZN2at6native15arange_cuda_outERKN3c106ScalarES6_S6_RNS1_6TensorEENKUlvE_clEvENKUlvE6_clEvEUllE_EEvT_T0_PN15function_traitsISD_E11result_typeE
; %bb.0:
	s_load_dword s3, s[0:1], 0x24
	s_load_dwordx4 s[4:7], s[0:1], 0x0
	s_add_u32 s8, s0, 24
	s_addc_u32 s9, s1, 0
	s_waitcnt lgkmcnt(0)
	s_and_b32 s3, s3, 0xffff
	s_mul_i32 s7, s2, s3
	v_add_u32_e32 v2, s7, v0
	v_cmp_gt_i32_e32 vcc, s4, v2
	s_and_saveexec_b64 s[10:11], vcc
	s_cbranch_execz .LBB76_8
; %bb.1:
	s_load_dword s7, s[8:9], 0x0
	s_load_dwordx2 s[10:11], s[0:1], 0x10
	s_waitcnt lgkmcnt(0)
	s_mul_i32 s8, s7, s3
	v_cvt_f32_u32_e32 v1, s8
	s_add_i32 s0, s2, s7
	s_mul_i32 s0, s0, s3
	s_sub_i32 s2, 0, s8
	v_rcp_iflag_f32_e32 v1, v1
	v_add_u32_e32 v3, s0, v0
	v_mov_b32_e32 v4, s0
	v_max_i32_e32 v5, s4, v3
	v_mul_f32_e32 v1, 0x4f7ffffe, v1
	v_cvt_u32_f32_e32 v1, v1
	v_cmp_gt_i32_e32 vcc, s4, v3
	v_mul_lo_u32 v3, s2, v1
	s_nop 0
	v_addc_co_u32_e64 v0, s[0:1], v0, v4, vcc
	v_mul_hi_u32 v3, v1, v3
	v_sub_u32_e32 v0, v5, v0
	v_add_u32_e32 v1, v1, v3
	v_mul_hi_u32 v1, v0, v1
	v_mul_lo_u32 v3, v1, s8
	v_sub_u32_e32 v0, v0, v3
	v_add_u32_e32 v4, 1, v1
	v_cmp_le_u32_e64 s[0:1], s8, v0
	v_subrev_u32_e32 v3, s8, v0
	s_mov_b64 s[2:3], -1
	v_cndmask_b32_e64 v1, v1, v4, s[0:1]
	v_cndmask_b32_e64 v0, v0, v3, s[0:1]
	v_add_u32_e32 v3, 1, v1
	v_cmp_le_u32_e64 s[0:1], s8, v0
	s_nop 1
	v_cndmask_b32_e64 v0, v1, v3, s[0:1]
	v_addc_co_u32_e32 v10, vcc, 1, v0, vcc
	v_cmp_lt_u32_e32 vcc, 3, v10
	s_and_saveexec_b64 s[0:1], vcc
	s_cbranch_execz .LBB76_5
; %bb.2:
	v_add_u32_e32 v3, s8, v2
	v_mad_u64_u32 v[0:1], s[14:15], s8, 3, v[2:3]
	v_lshl_add_u32 v4, s8, 1, v2
	v_mov_b32_e32 v5, v0
	v_and_b32_e32 v11, -4, v10
	s_mov_b32 s18, s5
	s_mov_b32 s19, s5
	s_lshl_b32 s7, s8, 2
	v_mov_b64_e32 v[6:7], v[4:5]
	s_mov_b32 s2, s6
	s_mov_b32 s3, s6
	;; [unrolled: 1-line block ×7, first 2 shown]
	s_mov_b64 s[14:15], 0
	v_mov_b32_e32 v0, s5
	v_mov_b32_e32 v1, s5
	v_mov_b64_e32 v[8:9], s[18:19]
	v_mov_b32_e32 v12, v11
	v_mov_b64_e32 v[4:5], v[2:3]
.LBB76_3:                               ; =>This Inner Loop Header: Depth=1
	v_cvt_f32_i32_e32 v23, v5
	v_cvt_f32_i32_e32 v22, v4
	;; [unrolled: 1-line block ×4, first 2 shown]
	v_add_u32_e32 v12, -4, v12
	v_ashrrev_i32_e32 v21, 31, v4
	v_mov_b32_e32 v20, v4
	v_cmp_eq_u32_e32 vcc, 0, v12
	v_pk_fma_f32 v[22:23], s[2:3], v[22:23], v[8:9]
	v_ashrrev_i32_e32 v15, 31, v7
	v_mov_b32_e32 v14, v7
	v_ashrrev_i32_e32 v17, 31, v6
	v_mov_b32_e32 v16, v6
	;; [unrolled: 2-line block ×3, first 2 shown]
	v_add_u32_e32 v7, s17, v7
	v_add_u32_e32 v6, s16, v6
	;; [unrolled: 1-line block ×4, first 2 shown]
	v_lshl_add_u64 v[20:21], v[20:21], 1, s[10:11]
	s_or_b64 s[14:15], vcc, s[14:15]
	v_pk_fma_f32 v[24:25], s[12:13], v[24:25], v[0:1]
	v_cvt_pk_f16_f32 v13, v22, v23
	v_lshl_add_u64 v[18:19], v[18:19], 1, s[10:11]
	v_lshl_add_u64 v[16:17], v[16:17], 1, s[10:11]
	;; [unrolled: 1-line block ×3, first 2 shown]
	v_cvt_pk_f16_f32 v3, v24, v25
	global_store_short v[20:21], v13, off
	global_store_short_d16_hi v[18:19], v13, off
	global_store_short v[16:17], v3, off
	global_store_short_d16_hi v[14:15], v3, off
	s_andn2_b64 exec, exec, s[14:15]
	s_cbranch_execnz .LBB76_3
; %bb.4:
	s_or_b64 exec, exec, s[14:15]
	v_mad_u64_u32 v[2:3], s[2:3], v11, s8, v[2:3]
	v_cmp_ne_u32_e32 vcc, v10, v11
	s_orn2_b64 s[2:3], vcc, exec
.LBB76_5:
	s_or_b64 exec, exec, s[0:1]
	s_and_b64 exec, exec, s[2:3]
	s_cbranch_execz .LBB76_8
; %bb.6:
	v_ashrrev_i32_e32 v3, 31, v2
	s_ashr_i32 s9, s8, 31
	v_lshl_add_u64 v[0:1], v[2:3], 1, s[10:11]
	s_lshl_b64 s[0:1], s[8:9], 1
	s_mov_b64 s[2:3], 0
	v_mov_b32_e32 v3, s5
.LBB76_7:                               ; =>This Inner Loop Header: Depth=1
	v_cvt_f32_i32_e32 v4, v2
	v_add_u32_e32 v2, s8, v2
	v_cmp_le_i32_e32 vcc, s4, v2
	s_or_b64 s[2:3], vcc, s[2:3]
	v_fma_mixlo_f16 v4, s6, v4, v3
	global_store_short v[0:1], v4, off
	v_lshl_add_u64 v[0:1], v[0:1], 0, s[0:1]
	s_andn2_b64 exec, exec, s[2:3]
	s_cbranch_execnz .LBB76_7
.LBB76_8:
	s_endpgm
	.section	.rodata,"a",@progbits
	.p2align	6, 0x0
	.amdhsa_kernel _ZN12_GLOBAL__N_141elementwise_kernel_with_index_grid_strideIiZZZN2at6native15arange_cuda_outERKN3c106ScalarES6_S6_RNS1_6TensorEENKUlvE_clEvENKUlvE6_clEvEUllE_EEvT_T0_PN15function_traitsISD_E11result_typeE
		.amdhsa_group_segment_fixed_size 0
		.amdhsa_private_segment_fixed_size 0
		.amdhsa_kernarg_size 280
		.amdhsa_user_sgpr_count 2
		.amdhsa_user_sgpr_dispatch_ptr 0
		.amdhsa_user_sgpr_queue_ptr 0
		.amdhsa_user_sgpr_kernarg_segment_ptr 1
		.amdhsa_user_sgpr_dispatch_id 0
		.amdhsa_user_sgpr_kernarg_preload_length 0
		.amdhsa_user_sgpr_kernarg_preload_offset 0
		.amdhsa_user_sgpr_private_segment_size 0
		.amdhsa_uses_dynamic_stack 0
		.amdhsa_enable_private_segment 0
		.amdhsa_system_sgpr_workgroup_id_x 1
		.amdhsa_system_sgpr_workgroup_id_y 0
		.amdhsa_system_sgpr_workgroup_id_z 0
		.amdhsa_system_sgpr_workgroup_info 0
		.amdhsa_system_vgpr_workitem_id 0
		.amdhsa_next_free_vgpr 26
		.amdhsa_next_free_sgpr 20
		.amdhsa_accum_offset 28
		.amdhsa_reserve_vcc 1
		.amdhsa_float_round_mode_32 0
		.amdhsa_float_round_mode_16_64 0
		.amdhsa_float_denorm_mode_32 3
		.amdhsa_float_denorm_mode_16_64 3
		.amdhsa_dx10_clamp 1
		.amdhsa_ieee_mode 1
		.amdhsa_fp16_overflow 0
		.amdhsa_tg_split 0
		.amdhsa_exception_fp_ieee_invalid_op 0
		.amdhsa_exception_fp_denorm_src 0
		.amdhsa_exception_fp_ieee_div_zero 0
		.amdhsa_exception_fp_ieee_overflow 0
		.amdhsa_exception_fp_ieee_underflow 0
		.amdhsa_exception_fp_ieee_inexact 0
		.amdhsa_exception_int_div_zero 0
	.end_amdhsa_kernel
	.section	.text._ZN12_GLOBAL__N_141elementwise_kernel_with_index_grid_strideIiZZZN2at6native15arange_cuda_outERKN3c106ScalarES6_S6_RNS1_6TensorEENKUlvE_clEvENKUlvE6_clEvEUllE_EEvT_T0_PN15function_traitsISD_E11result_typeE,"axG",@progbits,_ZN12_GLOBAL__N_141elementwise_kernel_with_index_grid_strideIiZZZN2at6native15arange_cuda_outERKN3c106ScalarES6_S6_RNS1_6TensorEENKUlvE_clEvENKUlvE6_clEvEUllE_EEvT_T0_PN15function_traitsISD_E11result_typeE,comdat
.Lfunc_end76:
	.size	_ZN12_GLOBAL__N_141elementwise_kernel_with_index_grid_strideIiZZZN2at6native15arange_cuda_outERKN3c106ScalarES6_S6_RNS1_6TensorEENKUlvE_clEvENKUlvE6_clEvEUllE_EEvT_T0_PN15function_traitsISD_E11result_typeE, .Lfunc_end76-_ZN12_GLOBAL__N_141elementwise_kernel_with_index_grid_strideIiZZZN2at6native15arange_cuda_outERKN3c106ScalarES6_S6_RNS1_6TensorEENKUlvE_clEvENKUlvE6_clEvEUllE_EEvT_T0_PN15function_traitsISD_E11result_typeE
                                        ; -- End function
	.set _ZN12_GLOBAL__N_141elementwise_kernel_with_index_grid_strideIiZZZN2at6native15arange_cuda_outERKN3c106ScalarES6_S6_RNS1_6TensorEENKUlvE_clEvENKUlvE6_clEvEUllE_EEvT_T0_PN15function_traitsISD_E11result_typeE.num_vgpr, 26
	.set _ZN12_GLOBAL__N_141elementwise_kernel_with_index_grid_strideIiZZZN2at6native15arange_cuda_outERKN3c106ScalarES6_S6_RNS1_6TensorEENKUlvE_clEvENKUlvE6_clEvEUllE_EEvT_T0_PN15function_traitsISD_E11result_typeE.num_agpr, 0
	.set _ZN12_GLOBAL__N_141elementwise_kernel_with_index_grid_strideIiZZZN2at6native15arange_cuda_outERKN3c106ScalarES6_S6_RNS1_6TensorEENKUlvE_clEvENKUlvE6_clEvEUllE_EEvT_T0_PN15function_traitsISD_E11result_typeE.numbered_sgpr, 20
	.set _ZN12_GLOBAL__N_141elementwise_kernel_with_index_grid_strideIiZZZN2at6native15arange_cuda_outERKN3c106ScalarES6_S6_RNS1_6TensorEENKUlvE_clEvENKUlvE6_clEvEUllE_EEvT_T0_PN15function_traitsISD_E11result_typeE.num_named_barrier, 0
	.set _ZN12_GLOBAL__N_141elementwise_kernel_with_index_grid_strideIiZZZN2at6native15arange_cuda_outERKN3c106ScalarES6_S6_RNS1_6TensorEENKUlvE_clEvENKUlvE6_clEvEUllE_EEvT_T0_PN15function_traitsISD_E11result_typeE.private_seg_size, 0
	.set _ZN12_GLOBAL__N_141elementwise_kernel_with_index_grid_strideIiZZZN2at6native15arange_cuda_outERKN3c106ScalarES6_S6_RNS1_6TensorEENKUlvE_clEvENKUlvE6_clEvEUllE_EEvT_T0_PN15function_traitsISD_E11result_typeE.uses_vcc, 1
	.set _ZN12_GLOBAL__N_141elementwise_kernel_with_index_grid_strideIiZZZN2at6native15arange_cuda_outERKN3c106ScalarES6_S6_RNS1_6TensorEENKUlvE_clEvENKUlvE6_clEvEUllE_EEvT_T0_PN15function_traitsISD_E11result_typeE.uses_flat_scratch, 0
	.set _ZN12_GLOBAL__N_141elementwise_kernel_with_index_grid_strideIiZZZN2at6native15arange_cuda_outERKN3c106ScalarES6_S6_RNS1_6TensorEENKUlvE_clEvENKUlvE6_clEvEUllE_EEvT_T0_PN15function_traitsISD_E11result_typeE.has_dyn_sized_stack, 0
	.set _ZN12_GLOBAL__N_141elementwise_kernel_with_index_grid_strideIiZZZN2at6native15arange_cuda_outERKN3c106ScalarES6_S6_RNS1_6TensorEENKUlvE_clEvENKUlvE6_clEvEUllE_EEvT_T0_PN15function_traitsISD_E11result_typeE.has_recursion, 0
	.set _ZN12_GLOBAL__N_141elementwise_kernel_with_index_grid_strideIiZZZN2at6native15arange_cuda_outERKN3c106ScalarES6_S6_RNS1_6TensorEENKUlvE_clEvENKUlvE6_clEvEUllE_EEvT_T0_PN15function_traitsISD_E11result_typeE.has_indirect_call, 0
	.section	.AMDGPU.csdata,"",@progbits
; Kernel info:
; codeLenInByte = 648
; TotalNumSgprs: 26
; NumVgprs: 26
; NumAgprs: 0
; TotalNumVgprs: 26
; ScratchSize: 0
; MemoryBound: 0
; FloatMode: 240
; IeeeMode: 1
; LDSByteSize: 0 bytes/workgroup (compile time only)
; SGPRBlocks: 3
; VGPRBlocks: 3
; NumSGPRsForWavesPerEU: 26
; NumVGPRsForWavesPerEU: 26
; AccumOffset: 28
; Occupancy: 8
; WaveLimiterHint : 0
; COMPUTE_PGM_RSRC2:SCRATCH_EN: 0
; COMPUTE_PGM_RSRC2:USER_SGPR: 2
; COMPUTE_PGM_RSRC2:TRAP_HANDLER: 0
; COMPUTE_PGM_RSRC2:TGID_X_EN: 1
; COMPUTE_PGM_RSRC2:TGID_Y_EN: 0
; COMPUTE_PGM_RSRC2:TGID_Z_EN: 0
; COMPUTE_PGM_RSRC2:TIDIG_COMP_CNT: 0
; COMPUTE_PGM_RSRC3_GFX90A:ACCUM_OFFSET: 6
; COMPUTE_PGM_RSRC3_GFX90A:TG_SPLIT: 0
	.section	.text._ZN12_GLOBAL__N_141elementwise_kernel_with_index_grid_strideIlZZZN2at6native15arange_cuda_outERKN3c106ScalarES6_S6_RNS1_6TensorEENKUlvE_clEvENKUlvE6_clEvEUllE_EEvT_T0_PN15function_traitsISD_E11result_typeE,"axG",@progbits,_ZN12_GLOBAL__N_141elementwise_kernel_with_index_grid_strideIlZZZN2at6native15arange_cuda_outERKN3c106ScalarES6_S6_RNS1_6TensorEENKUlvE_clEvENKUlvE6_clEvEUllE_EEvT_T0_PN15function_traitsISD_E11result_typeE,comdat
	.globl	_ZN12_GLOBAL__N_141elementwise_kernel_with_index_grid_strideIlZZZN2at6native15arange_cuda_outERKN3c106ScalarES6_S6_RNS1_6TensorEENKUlvE_clEvENKUlvE6_clEvEUllE_EEvT_T0_PN15function_traitsISD_E11result_typeE ; -- Begin function _ZN12_GLOBAL__N_141elementwise_kernel_with_index_grid_strideIlZZZN2at6native15arange_cuda_outERKN3c106ScalarES6_S6_RNS1_6TensorEENKUlvE_clEvENKUlvE6_clEvEUllE_EEvT_T0_PN15function_traitsISD_E11result_typeE
	.p2align	8
	.type	_ZN12_GLOBAL__N_141elementwise_kernel_with_index_grid_strideIlZZZN2at6native15arange_cuda_outERKN3c106ScalarES6_S6_RNS1_6TensorEENKUlvE_clEvENKUlvE6_clEvEUllE_EEvT_T0_PN15function_traitsISD_E11result_typeE,@function
_ZN12_GLOBAL__N_141elementwise_kernel_with_index_grid_strideIlZZZN2at6native15arange_cuda_outERKN3c106ScalarES6_S6_RNS1_6TensorEENKUlvE_clEvENKUlvE6_clEvEUllE_EEvT_T0_PN15function_traitsISD_E11result_typeE: ; @_ZN12_GLOBAL__N_141elementwise_kernel_with_index_grid_strideIlZZZN2at6native15arange_cuda_outERKN3c106ScalarES6_S6_RNS1_6TensorEENKUlvE_clEvENKUlvE6_clEvEUllE_EEvT_T0_PN15function_traitsISD_E11result_typeE
; %bb.0:
	s_load_dword s3, s[0:1], 0x24
	s_load_dwordx2 s[4:5], s[0:1], 0x0
	s_add_u32 s6, s0, 24
	s_addc_u32 s7, s1, 0
	v_mov_b32_e32 v1, 0
	s_waitcnt lgkmcnt(0)
	s_and_b32 s3, s3, 0xffff
	v_mov_b32_e32 v2, s2
	v_mad_u64_u32 v[2:3], s[8:9], s3, v2, v[0:1]
	v_cmp_gt_i64_e32 vcc, s[4:5], v[2:3]
	s_and_saveexec_b64 s[8:9], vcc
	s_cbranch_execz .LBB77_14
; %bb.1:
	s_load_dword s10, s[6:7], 0x0
	v_mov_b32_e32 v4, s3
	s_mov_b32 s11, 0
	v_mov_b32_e32 v5, s11
	s_load_dwordx2 s[6:7], s[0:1], 0x8
	s_waitcnt lgkmcnt(0)
	s_add_u32 s2, s2, s10
	s_mul_hi_u32 s9, s3, s10
	s_mul_i32 s8, s3, s10
	s_addc_u32 s10, 0, 0
	s_mul_i32 s10, s10, s3
	v_mad_u64_u32 v[6:7], s[2:3], s2, v4, v[0:1]
	v_add_u32_e32 v7, s10, v7
	v_cmp_gt_i64_e32 vcc, s[4:5], v[6:7]
	v_mov_b32_e32 v4, s4
	v_mov_b32_e32 v0, s5
	v_cndmask_b32_e32 v8, v6, v4, vcc
	v_cndmask_b32_e64 v4, 0, 1, vcc
	v_cndmask_b32_e32 v0, v7, v0, vcc
	v_lshl_add_u64 v[6:7], v[6:7], 0, v[4:5]
	v_sub_co_u32_e32 v6, vcc, v8, v6
	v_mov_b32_e32 v8, v1
	s_nop 0
	v_subb_co_u32_e32 v7, vcc, v0, v7, vcc
	v_or_b32_e32 v9, s9, v7
	v_cmp_ne_u64_e32 vcc, 0, v[8:9]
                                        ; implicit-def: $vgpr0_vgpr1
	s_and_saveexec_b64 s[2:3], vcc
	s_xor_b64 s[10:11], exec, s[2:3]
	s_cbranch_execz .LBB77_3
; %bb.2:
	v_cvt_f32_u32_e32 v0, s8
	v_cvt_f32_u32_e32 v1, s9
	s_sub_u32 s12, 0, s8
	s_subb_u32 s13, 0, s9
	v_mov_b32_e32 v9, 0
	v_fmamk_f32 v0, v1, 0x4f800000, v0
	v_rcp_f32_e32 v0, v0
	s_nop 0
	v_mul_f32_e32 v0, 0x5f7ffffc, v0
	v_mul_f32_e32 v1, 0x2f800000, v0
	v_trunc_f32_e32 v1, v1
	v_fmamk_f32 v0, v1, 0xcf800000, v0
	v_cvt_u32_f32_e32 v1, v1
	v_cvt_u32_f32_e32 v0, v0
	v_readfirstlane_b32 s14, v1
	v_readfirstlane_b32 s2, v0
	s_mul_i32 s3, s12, s14
	s_mul_hi_u32 s16, s12, s2
	s_mul_i32 s15, s13, s2
	s_add_i32 s3, s16, s3
	s_mul_i32 s17, s12, s2
	s_add_i32 s3, s3, s15
	s_mul_i32 s16, s2, s3
	s_mul_hi_u32 s18, s2, s17
	s_mul_hi_u32 s15, s2, s3
	s_add_u32 s16, s18, s16
	s_addc_u32 s15, 0, s15
	s_mul_hi_u32 s19, s14, s17
	s_mul_i32 s17, s14, s17
	s_add_u32 s16, s16, s17
	s_mul_hi_u32 s18, s14, s3
	s_addc_u32 s15, s15, s19
	s_addc_u32 s16, s18, 0
	s_mul_i32 s3, s14, s3
	s_add_u32 s3, s15, s3
	s_addc_u32 s15, 0, s16
	s_add_u32 s16, s2, s3
	s_cselect_b64 s[2:3], -1, 0
	s_cmp_lg_u64 s[2:3], 0
	s_addc_u32 s14, s14, s15
	s_mul_i32 s2, s12, s14
	s_mul_hi_u32 s3, s12, s16
	s_add_i32 s2, s3, s2
	s_mul_i32 s13, s13, s16
	s_add_i32 s2, s2, s13
	s_mul_i32 s12, s12, s16
	s_mul_hi_u32 s13, s14, s12
	s_mul_i32 s15, s14, s12
	s_mul_i32 s18, s16, s2
	s_mul_hi_u32 s12, s16, s12
	s_mul_hi_u32 s17, s16, s2
	s_add_u32 s12, s12, s18
	s_addc_u32 s17, 0, s17
	s_add_u32 s12, s12, s15
	s_mul_hi_u32 s3, s14, s2
	s_addc_u32 s12, s17, s13
	s_addc_u32 s3, s3, 0
	s_mul_i32 s2, s14, s2
	s_add_u32 s2, s12, s2
	s_addc_u32 s12, 0, s3
	s_add_u32 s13, s16, s2
	s_cselect_b64 s[2:3], -1, 0
	s_cmp_lg_u64 s[2:3], 0
	s_addc_u32 s12, s14, s12
	v_mad_u64_u32 v[0:1], s[2:3], v6, s12, 0
	v_mul_hi_u32 v8, v6, s13
	v_lshl_add_u64 v[0:1], v[8:9], 0, v[0:1]
	v_mad_u64_u32 v[12:13], s[2:3], v7, s13, 0
	v_add_co_u32_e32 v0, vcc, v0, v12
	v_mad_u64_u32 v[10:11], s[2:3], v7, s12, 0
	s_nop 0
	v_addc_co_u32_e32 v8, vcc, v1, v13, vcc
	s_nop 1
	v_addc_co_u32_e32 v11, vcc, 0, v11, vcc
	v_lshl_add_u64 v[0:1], v[8:9], 0, v[10:11]
	v_mul_lo_u32 v10, s9, v0
	v_mul_lo_u32 v11, s8, v1
	v_mad_u64_u32 v[8:9], s[2:3], s8, v0, 0
	v_add3_u32 v12, v9, v11, v10
	v_sub_u32_e32 v9, v7, v12
	v_mov_b32_e32 v10, s9
	v_sub_co_u32_e32 v6, vcc, v6, v8
	s_nop 1
	v_subb_co_u32_e64 v8, s[2:3], v9, v10, vcc
	v_subrev_co_u32_e64 v9, s[2:3], s8, v6
	v_subb_co_u32_e32 v7, vcc, v7, v12, vcc
	s_nop 0
	v_subbrev_co_u32_e64 v8, s[2:3], 0, v8, s[2:3]
	v_cmp_le_u32_e64 s[2:3], s9, v8
	v_cmp_le_u32_e32 vcc, s9, v7
	s_nop 0
	v_cndmask_b32_e64 v10, 0, -1, s[2:3]
	v_cmp_le_u32_e64 s[2:3], s8, v9
	s_nop 1
	v_cndmask_b32_e64 v9, 0, -1, s[2:3]
	v_cmp_eq_u32_e64 s[2:3], s9, v8
	s_nop 1
	v_cndmask_b32_e64 v13, v10, v9, s[2:3]
	v_lshl_add_u64 v[8:9], v[0:1], 0, 2
	v_lshl_add_u64 v[10:11], v[0:1], 0, 1
	v_cmp_ne_u32_e64 s[2:3], 0, v13
	s_nop 1
	v_cndmask_b32_e64 v9, v11, v9, s[2:3]
	v_cndmask_b32_e64 v11, 0, -1, vcc
	v_cmp_le_u32_e32 vcc, s8, v6
	s_nop 1
	v_cndmask_b32_e64 v6, 0, -1, vcc
	v_cmp_eq_u32_e32 vcc, s9, v7
	s_nop 1
	v_cndmask_b32_e32 v6, v11, v6, vcc
	v_cmp_ne_u32_e32 vcc, 0, v6
	v_cndmask_b32_e64 v6, v10, v8, s[2:3]
	s_nop 0
	v_cndmask_b32_e32 v1, v1, v9, vcc
	v_cndmask_b32_e32 v0, v0, v6, vcc
                                        ; implicit-def: $vgpr6
.LBB77_3:
	s_andn2_saveexec_b64 s[2:3], s[10:11]
	s_cbranch_execz .LBB77_5
; %bb.4:
	v_cvt_f32_u32_e32 v0, s8
	s_sub_i32 s10, 0, s8
	v_rcp_iflag_f32_e32 v0, v0
	s_nop 0
	v_mul_f32_e32 v0, 0x4f7ffffe, v0
	v_cvt_u32_f32_e32 v0, v0
	v_mul_lo_u32 v1, s10, v0
	v_mul_hi_u32 v1, v0, v1
	v_add_u32_e32 v0, v0, v1
	v_mul_hi_u32 v0, v6, v0
	v_mul_lo_u32 v1, v0, s8
	v_sub_u32_e32 v1, v6, v1
	v_add_u32_e32 v7, 1, v0
	v_subrev_u32_e32 v6, s8, v1
	v_cmp_le_u32_e32 vcc, s8, v1
	s_nop 1
	v_cndmask_b32_e32 v1, v1, v6, vcc
	v_cndmask_b32_e32 v0, v0, v7, vcc
	v_add_u32_e32 v6, 1, v0
	v_cmp_le_u32_e32 vcc, s8, v1
	v_mov_b32_e32 v1, 0
	s_nop 0
	v_cndmask_b32_e32 v0, v0, v6, vcc
.LBB77_5:
	s_or_b64 exec, exec, s[2:3]
	s_load_dwordx2 s[0:1], s[0:1], 0x10
	v_lshl_add_u64 v[0:1], v[0:1], 0, v[4:5]
	v_lshl_add_u64 v[0:1], v[0:1], 0, 1
	v_cmp_lt_u64_e32 vcc, 3, v[0:1]
	s_mov_b64 s[10:11], 0
                                        ; implicit-def: $vgpr4_vgpr5
	s_and_saveexec_b64 s[2:3], vcc
	s_xor_b64 s[2:3], exec, s[2:3]
	s_cbranch_execnz .LBB77_8
; %bb.6:
	s_andn2_saveexec_b64 s[2:3], s[2:3]
	s_cbranch_execnz .LBB77_11
.LBB77_7:
	s_or_b64 exec, exec, s[2:3]
	s_and_b64 exec, exec, s[10:11]
	s_cbranch_execnz .LBB77_12
	s_branch .LBB77_14
.LBB77_8:
	v_mad_u64_u32 v[8:9], s[14:15], s8, 3, v[2:3]
	v_mov_b32_e32 v10, v9
	v_mad_u64_u32 v[6:7], s[14:15], s8, 2, v[2:3]
	v_mad_u64_u32 v[4:5], s[14:15], s8, 1, v[2:3]
	;; [unrolled: 1-line block ×3, first 2 shown]
	v_lshl_add_u32 v7, s9, 1, v7
	v_add_u32_e32 v5, s9, v5
	v_mov_b32_e32 v9, v10
	v_and_b32_e32 v12, -4, v0
	v_mov_b32_e32 v13, v1
	s_mov_b32 s30, s6
	s_mov_b32 s31, s6
	s_lshl_b64 s[16:17], s[8:9], 2
	s_mul_i32 s24, s9, 6
	s_mul_hi_u32 s25, s8, 6
	v_mov_b64_e32 v[10:11], v[8:9]
	s_mov_b32 s10, s7
	s_mov_b32 s11, s7
	;; [unrolled: 1-line block ×10, first 2 shown]
	s_lshl_b64 s[14:15], s[8:9], 1
	s_add_i32 s25, s25, s24
	s_mul_i32 s24, s8, 6
	s_waitcnt lgkmcnt(0)
	v_lshl_add_u64 v[14:15], v[2:3], 1, s[0:1]
	s_lshl_b64 s[28:29], s[8:9], 3
	s_mov_b64 s[26:27], 0
	v_mov_b64_e32 v[16:17], s[30:31]
	v_mov_b32_e32 v18, s6
	v_mov_b32_e32 v19, s6
	v_mov_b64_e32 v[20:21], v[12:13]
	v_mov_b64_e32 v[8:9], v[6:7]
	;; [unrolled: 1-line block ×4, first 2 shown]
.LBB77_9:                               ; =>This Inner Loop Header: Depth=1
	v_ffbh_u32_e32 v28, v11
	v_ffbh_u32_e32 v29, v9
	;; [unrolled: 1-line block ×4, first 2 shown]
	v_min_u32_e32 v32, 32, v28
	v_min_u32_e32 v33, 32, v29
	v_min_u32_e32 v34, 32, v30
	v_min_u32_e32 v36, 32, v31
	v_lshlrev_b64 v[28:29], v32, v[10:11]
	v_sub_u32_e32 v37, 32, v32
	v_lshlrev_b64 v[30:31], v33, v[8:9]
	v_sub_u32_e32 v38, 32, v33
	;; [unrolled: 2-line block ×3, first 2 shown]
	v_lshlrev_b64 v[34:35], v36, v[4:5]
	v_min_u32_e32 v28, 1, v28
	v_min_u32_e32 v30, 1, v30
	;; [unrolled: 1-line block ×4, first 2 shown]
	v_or_b32_e32 v28, v29, v28
	v_or_b32_e32 v29, v31, v30
	;; [unrolled: 1-line block ×4, first 2 shown]
	v_cvt_f32_u32_e32 v28, v28
	v_cvt_f32_u32_e32 v32, v29
	;; [unrolled: 1-line block ×4, first 2 shown]
	v_sub_u32_e32 v36, 32, v36
	v_ldexp_f32 v29, v28, v37
	v_ldexp_f32 v28, v32, v38
	;; [unrolled: 1-line block ×4, first 2 shown]
	v_lshl_add_u64 v[20:21], v[20:21], 0, -4
	v_pk_fma_f32 v[30:31], s[10:11], v[30:31], v[16:17]
	v_pk_fma_f32 v[28:29], s[12:13], v[28:29], v[18:19]
	v_cmp_eq_u64_e32 vcc, 0, v[20:21]
	v_cvt_pk_f16_f32 v28, v28, v29
	v_cvt_pk_f16_f32 v29, v30, v31
	v_lshl_add_u64 v[22:23], v[14:15], 0, s[14:15]
	v_lshl_add_u64 v[24:25], v[14:15], 0, s[16:17]
	;; [unrolled: 1-line block ×7, first 2 shown]
	s_or_b64 s[26:27], vcc, s[26:27]
	global_store_short v[14:15], v29, off
	global_store_short_d16_hi v[22:23], v29, off
	global_store_short v[24:25], v28, off
	global_store_short_d16_hi v[26:27], v28, off
	v_lshl_add_u64 v[14:15], v[14:15], 0, s[28:29]
	s_andn2_b64 exec, exec, s[26:27]
	s_cbranch_execnz .LBB77_9
; %bb.10:
	s_or_b64 exec, exec, s[26:27]
	v_mad_u64_u32 v[2:3], s[10:11], v12, s8, v[2:3]
	v_mul_lo_u32 v4, v12, s9
	v_mul_lo_u32 v5, v13, s8
	v_cmp_ne_u64_e32 vcc, v[0:1], v[12:13]
	v_add3_u32 v3, v5, v3, v4
	v_mov_b64_e32 v[4:5], s[14:15]
	s_and_b64 s[10:11], vcc, exec
	s_andn2_saveexec_b64 s[2:3], s[2:3]
	s_cbranch_execz .LBB77_7
.LBB77_11:
	s_lshl_b64 s[12:13], s[8:9], 1
	v_mov_b64_e32 v[4:5], s[12:13]
	s_or_b64 s[10:11], s[10:11], exec
	s_or_b64 exec, exec, s[2:3]
	s_and_b64 exec, exec, s[10:11]
	s_cbranch_execz .LBB77_14
.LBB77_12:
	s_waitcnt lgkmcnt(0)
	v_lshl_add_u64 v[0:1], v[2:3], 1, s[0:1]
	s_mov_b64 s[0:1], 0
	v_mov_b32_e32 v6, s6
.LBB77_13:                              ; =>This Inner Loop Header: Depth=1
	v_ffbh_u32_e32 v7, v3
	v_min_u32_e32 v7, 32, v7
	v_lshlrev_b64 v[8:9], v7, v[2:3]
	v_min_u32_e32 v8, 1, v8
	v_or_b32_e32 v8, v9, v8
	v_cvt_f32_u32_e32 v8, v8
	v_sub_u32_e32 v7, 32, v7
	v_lshl_add_u64 v[2:3], v[2:3], 0, s[8:9]
	v_cmp_le_i64_e32 vcc, s[4:5], v[2:3]
	v_ldexp_f32 v7, v8, v7
	v_fma_mixlo_f16 v7, s7, v7, v6
	s_or_b64 s[0:1], vcc, s[0:1]
	global_store_short v[0:1], v7, off
	v_lshl_add_u64 v[0:1], v[0:1], 0, v[4:5]
	s_andn2_b64 exec, exec, s[0:1]
	s_cbranch_execnz .LBB77_13
.LBB77_14:
	s_endpgm
	.section	.rodata,"a",@progbits
	.p2align	6, 0x0
	.amdhsa_kernel _ZN12_GLOBAL__N_141elementwise_kernel_with_index_grid_strideIlZZZN2at6native15arange_cuda_outERKN3c106ScalarES6_S6_RNS1_6TensorEENKUlvE_clEvENKUlvE6_clEvEUllE_EEvT_T0_PN15function_traitsISD_E11result_typeE
		.amdhsa_group_segment_fixed_size 0
		.amdhsa_private_segment_fixed_size 0
		.amdhsa_kernarg_size 280
		.amdhsa_user_sgpr_count 2
		.amdhsa_user_sgpr_dispatch_ptr 0
		.amdhsa_user_sgpr_queue_ptr 0
		.amdhsa_user_sgpr_kernarg_segment_ptr 1
		.amdhsa_user_sgpr_dispatch_id 0
		.amdhsa_user_sgpr_kernarg_preload_length 0
		.amdhsa_user_sgpr_kernarg_preload_offset 0
		.amdhsa_user_sgpr_private_segment_size 0
		.amdhsa_uses_dynamic_stack 0
		.amdhsa_enable_private_segment 0
		.amdhsa_system_sgpr_workgroup_id_x 1
		.amdhsa_system_sgpr_workgroup_id_y 0
		.amdhsa_system_sgpr_workgroup_id_z 0
		.amdhsa_system_sgpr_workgroup_info 0
		.amdhsa_system_vgpr_workitem_id 0
		.amdhsa_next_free_vgpr 40
		.amdhsa_next_free_sgpr 32
		.amdhsa_accum_offset 40
		.amdhsa_reserve_vcc 1
		.amdhsa_float_round_mode_32 0
		.amdhsa_float_round_mode_16_64 0
		.amdhsa_float_denorm_mode_32 3
		.amdhsa_float_denorm_mode_16_64 3
		.amdhsa_dx10_clamp 1
		.amdhsa_ieee_mode 1
		.amdhsa_fp16_overflow 0
		.amdhsa_tg_split 0
		.amdhsa_exception_fp_ieee_invalid_op 0
		.amdhsa_exception_fp_denorm_src 0
		.amdhsa_exception_fp_ieee_div_zero 0
		.amdhsa_exception_fp_ieee_overflow 0
		.amdhsa_exception_fp_ieee_underflow 0
		.amdhsa_exception_fp_ieee_inexact 0
		.amdhsa_exception_int_div_zero 0
	.end_amdhsa_kernel
	.section	.text._ZN12_GLOBAL__N_141elementwise_kernel_with_index_grid_strideIlZZZN2at6native15arange_cuda_outERKN3c106ScalarES6_S6_RNS1_6TensorEENKUlvE_clEvENKUlvE6_clEvEUllE_EEvT_T0_PN15function_traitsISD_E11result_typeE,"axG",@progbits,_ZN12_GLOBAL__N_141elementwise_kernel_with_index_grid_strideIlZZZN2at6native15arange_cuda_outERKN3c106ScalarES6_S6_RNS1_6TensorEENKUlvE_clEvENKUlvE6_clEvEUllE_EEvT_T0_PN15function_traitsISD_E11result_typeE,comdat
.Lfunc_end77:
	.size	_ZN12_GLOBAL__N_141elementwise_kernel_with_index_grid_strideIlZZZN2at6native15arange_cuda_outERKN3c106ScalarES6_S6_RNS1_6TensorEENKUlvE_clEvENKUlvE6_clEvEUllE_EEvT_T0_PN15function_traitsISD_E11result_typeE, .Lfunc_end77-_ZN12_GLOBAL__N_141elementwise_kernel_with_index_grid_strideIlZZZN2at6native15arange_cuda_outERKN3c106ScalarES6_S6_RNS1_6TensorEENKUlvE_clEvENKUlvE6_clEvEUllE_EEvT_T0_PN15function_traitsISD_E11result_typeE
                                        ; -- End function
	.set _ZN12_GLOBAL__N_141elementwise_kernel_with_index_grid_strideIlZZZN2at6native15arange_cuda_outERKN3c106ScalarES6_S6_RNS1_6TensorEENKUlvE_clEvENKUlvE6_clEvEUllE_EEvT_T0_PN15function_traitsISD_E11result_typeE.num_vgpr, 40
	.set _ZN12_GLOBAL__N_141elementwise_kernel_with_index_grid_strideIlZZZN2at6native15arange_cuda_outERKN3c106ScalarES6_S6_RNS1_6TensorEENKUlvE_clEvENKUlvE6_clEvEUllE_EEvT_T0_PN15function_traitsISD_E11result_typeE.num_agpr, 0
	.set _ZN12_GLOBAL__N_141elementwise_kernel_with_index_grid_strideIlZZZN2at6native15arange_cuda_outERKN3c106ScalarES6_S6_RNS1_6TensorEENKUlvE_clEvENKUlvE6_clEvEUllE_EEvT_T0_PN15function_traitsISD_E11result_typeE.numbered_sgpr, 32
	.set _ZN12_GLOBAL__N_141elementwise_kernel_with_index_grid_strideIlZZZN2at6native15arange_cuda_outERKN3c106ScalarES6_S6_RNS1_6TensorEENKUlvE_clEvENKUlvE6_clEvEUllE_EEvT_T0_PN15function_traitsISD_E11result_typeE.num_named_barrier, 0
	.set _ZN12_GLOBAL__N_141elementwise_kernel_with_index_grid_strideIlZZZN2at6native15arange_cuda_outERKN3c106ScalarES6_S6_RNS1_6TensorEENKUlvE_clEvENKUlvE6_clEvEUllE_EEvT_T0_PN15function_traitsISD_E11result_typeE.private_seg_size, 0
	.set _ZN12_GLOBAL__N_141elementwise_kernel_with_index_grid_strideIlZZZN2at6native15arange_cuda_outERKN3c106ScalarES6_S6_RNS1_6TensorEENKUlvE_clEvENKUlvE6_clEvEUllE_EEvT_T0_PN15function_traitsISD_E11result_typeE.uses_vcc, 1
	.set _ZN12_GLOBAL__N_141elementwise_kernel_with_index_grid_strideIlZZZN2at6native15arange_cuda_outERKN3c106ScalarES6_S6_RNS1_6TensorEENKUlvE_clEvENKUlvE6_clEvEUllE_EEvT_T0_PN15function_traitsISD_E11result_typeE.uses_flat_scratch, 0
	.set _ZN12_GLOBAL__N_141elementwise_kernel_with_index_grid_strideIlZZZN2at6native15arange_cuda_outERKN3c106ScalarES6_S6_RNS1_6TensorEENKUlvE_clEvENKUlvE6_clEvEUllE_EEvT_T0_PN15function_traitsISD_E11result_typeE.has_dyn_sized_stack, 0
	.set _ZN12_GLOBAL__N_141elementwise_kernel_with_index_grid_strideIlZZZN2at6native15arange_cuda_outERKN3c106ScalarES6_S6_RNS1_6TensorEENKUlvE_clEvENKUlvE6_clEvEUllE_EEvT_T0_PN15function_traitsISD_E11result_typeE.has_recursion, 0
	.set _ZN12_GLOBAL__N_141elementwise_kernel_with_index_grid_strideIlZZZN2at6native15arange_cuda_outERKN3c106ScalarES6_S6_RNS1_6TensorEENKUlvE_clEvENKUlvE6_clEvEUllE_EEvT_T0_PN15function_traitsISD_E11result_typeE.has_indirect_call, 0
	.section	.AMDGPU.csdata,"",@progbits
; Kernel info:
; codeLenInByte = 1660
; TotalNumSgprs: 38
; NumVgprs: 40
; NumAgprs: 0
; TotalNumVgprs: 40
; ScratchSize: 0
; MemoryBound: 0
; FloatMode: 240
; IeeeMode: 1
; LDSByteSize: 0 bytes/workgroup (compile time only)
; SGPRBlocks: 4
; VGPRBlocks: 4
; NumSGPRsForWavesPerEU: 38
; NumVGPRsForWavesPerEU: 40
; AccumOffset: 40
; Occupancy: 8
; WaveLimiterHint : 0
; COMPUTE_PGM_RSRC2:SCRATCH_EN: 0
; COMPUTE_PGM_RSRC2:USER_SGPR: 2
; COMPUTE_PGM_RSRC2:TRAP_HANDLER: 0
; COMPUTE_PGM_RSRC2:TGID_X_EN: 1
; COMPUTE_PGM_RSRC2:TGID_Y_EN: 0
; COMPUTE_PGM_RSRC2:TGID_Z_EN: 0
; COMPUTE_PGM_RSRC2:TIDIG_COMP_CNT: 0
; COMPUTE_PGM_RSRC3_GFX90A:ACCUM_OFFSET: 9
; COMPUTE_PGM_RSRC3_GFX90A:TG_SPLIT: 0
	.section	.text._ZN12_GLOBAL__N_141elementwise_kernel_with_index_grid_strideIiZZZN2at6native15arange_cuda_outERKN3c106ScalarES6_S6_RNS1_6TensorEENKUlvE_clEvENKUlvE7_clEvEUllE_EEvT_T0_PN15function_traitsISD_E11result_typeE,"axG",@progbits,_ZN12_GLOBAL__N_141elementwise_kernel_with_index_grid_strideIiZZZN2at6native15arange_cuda_outERKN3c106ScalarES6_S6_RNS1_6TensorEENKUlvE_clEvENKUlvE7_clEvEUllE_EEvT_T0_PN15function_traitsISD_E11result_typeE,comdat
	.globl	_ZN12_GLOBAL__N_141elementwise_kernel_with_index_grid_strideIiZZZN2at6native15arange_cuda_outERKN3c106ScalarES6_S6_RNS1_6TensorEENKUlvE_clEvENKUlvE7_clEvEUllE_EEvT_T0_PN15function_traitsISD_E11result_typeE ; -- Begin function _ZN12_GLOBAL__N_141elementwise_kernel_with_index_grid_strideIiZZZN2at6native15arange_cuda_outERKN3c106ScalarES6_S6_RNS1_6TensorEENKUlvE_clEvENKUlvE7_clEvEUllE_EEvT_T0_PN15function_traitsISD_E11result_typeE
	.p2align	8
	.type	_ZN12_GLOBAL__N_141elementwise_kernel_with_index_grid_strideIiZZZN2at6native15arange_cuda_outERKN3c106ScalarES6_S6_RNS1_6TensorEENKUlvE_clEvENKUlvE7_clEvEUllE_EEvT_T0_PN15function_traitsISD_E11result_typeE,@function
_ZN12_GLOBAL__N_141elementwise_kernel_with_index_grid_strideIiZZZN2at6native15arange_cuda_outERKN3c106ScalarES6_S6_RNS1_6TensorEENKUlvE_clEvENKUlvE7_clEvEUllE_EEvT_T0_PN15function_traitsISD_E11result_typeE: ; @_ZN12_GLOBAL__N_141elementwise_kernel_with_index_grid_strideIiZZZN2at6native15arange_cuda_outERKN3c106ScalarES6_S6_RNS1_6TensorEENKUlvE_clEvENKUlvE7_clEvEUllE_EEvT_T0_PN15function_traitsISD_E11result_typeE
; %bb.0:
	s_load_dword s3, s[0:1], 0x24
	s_load_dwordx4 s[8:11], s[0:1], 0x0
	s_add_u32 s4, s0, 24
	s_addc_u32 s5, s1, 0
	s_waitcnt lgkmcnt(0)
	s_and_b32 s3, s3, 0xffff
	s_mul_i32 s6, s2, s3
	v_add_u32_e32 v2, s6, v0
	v_cmp_gt_i32_e32 vcc, s8, v2
	s_and_saveexec_b64 s[6:7], vcc
	s_cbranch_execz .LBB78_8
; %bb.1:
	s_load_dword s7, s[4:5], 0x0
	s_load_dwordx2 s[12:13], s[0:1], 0x10
	s_waitcnt lgkmcnt(0)
	s_mul_i32 s6, s7, s3
	v_cvt_f32_u32_e32 v1, s6
	s_add_i32 s0, s2, s7
	s_mul_i32 s0, s0, s3
	s_sub_i32 s2, 0, s6
	v_rcp_iflag_f32_e32 v1, v1
	v_add_u32_e32 v3, s0, v0
	v_mov_b32_e32 v4, s0
	v_max_i32_e32 v5, s8, v3
	v_mul_f32_e32 v1, 0x4f7ffffe, v1
	v_cvt_u32_f32_e32 v1, v1
	v_cmp_gt_i32_e32 vcc, s8, v3
	v_mul_lo_u32 v3, s2, v1
	s_nop 0
	v_addc_co_u32_e64 v0, s[0:1], v0, v4, vcc
	v_mul_hi_u32 v3, v1, v3
	v_sub_u32_e32 v0, v5, v0
	v_add_u32_e32 v1, v1, v3
	v_mul_hi_u32 v1, v0, v1
	v_mul_lo_u32 v3, v1, s6
	v_sub_u32_e32 v0, v0, v3
	v_add_u32_e32 v4, 1, v1
	v_cmp_le_u32_e64 s[0:1], s6, v0
	v_subrev_u32_e32 v3, s6, v0
	s_nop 0
	v_cndmask_b32_e64 v1, v1, v4, s[0:1]
	v_cndmask_b32_e64 v0, v0, v3, s[0:1]
	v_add_u32_e32 v3, 1, v1
	v_cmp_le_u32_e64 s[0:1], s6, v0
	s_nop 1
	v_cndmask_b32_e64 v0, v1, v3, s[0:1]
	v_addc_co_u32_e32 v10, vcc, 1, v0, vcc
	v_cmp_lt_u32_e32 vcc, 3, v10
	s_mov_b64 s[0:1], -1
	s_and_saveexec_b64 s[14:15], vcc
	s_cbranch_execz .LBB78_5
; %bb.2:
	v_add_u32_e32 v3, s6, v2
	v_mad_u64_u32 v[0:1], s[2:3], s6, 3, v[2:3]
	v_lshl_add_u32 v4, s6, 1, v2
	v_mov_b32_e32 v5, v0
	v_and_b32_e32 v11, -4, v10
	s_mov_b32 s0, s9
	s_mov_b32 s1, s9
	s_lshl_b32 s7, s6, 2
	v_mov_b64_e32 v[6:7], v[4:5]
	s_mov_b32 s16, s10
	s_mov_b32 s17, s10
	;; [unrolled: 1-line block ×7, first 2 shown]
	s_mov_b64 s[20:21], 0
	v_mov_b32_e32 v0, s9
	v_mov_b32_e32 v1, s9
	v_mov_b64_e32 v[8:9], s[0:1]
	s_movk_i32 s24, 0x7fff
	v_mov_b32_e32 v12, 0x7fc0
	v_mov_b32_e32 v13, v11
	v_mov_b64_e32 v[4:5], v[2:3]
.LBB78_3:                               ; =>This Inner Loop Header: Depth=1
	v_cvt_f32_i32_e32 v23, v5
	v_cvt_f32_i32_e32 v22, v4
	;; [unrolled: 1-line block ×4, first 2 shown]
	v_add_u32_e32 v13, -4, v13
	v_pk_fma_f32 v[22:23], s[16:17], v[22:23], v[8:9]
	v_ashrrev_i32_e32 v21, 31, v4
	v_pk_fma_f32 v[24:25], s[18:19], v[24:25], v[0:1]
	v_bfe_u32 v28, v22, 16, 1
	v_bfe_u32 v3, v25, 16, 1
	;; [unrolled: 1-line block ×4, first 2 shown]
	v_add3_u32 v28, v22, v28, s24
	v_mov_b32_e32 v20, v4
	v_cmp_eq_u32_e32 vcc, 0, v13
	v_add3_u32 v26, v24, v26, s24
	v_add3_u32 v3, v25, v3, s24
	;; [unrolled: 1-line block ×3, first 2 shown]
	v_lshrrev_b32_e32 v28, 16, v28
	v_cmp_o_f32_e64 s[2:3], v22, v22
	v_ashrrev_i32_e32 v15, 31, v7
	v_mov_b32_e32 v14, v7
	v_ashrrev_i32_e32 v17, 31, v6
	v_mov_b32_e32 v16, v6
	;; [unrolled: 2-line block ×3, first 2 shown]
	v_add_u32_e32 v7, s23, v7
	v_add_u32_e32 v6, s22, v6
	;; [unrolled: 1-line block ×4, first 2 shown]
	v_lshl_add_u64 v[20:21], v[20:21], 1, s[12:13]
	s_or_b64 s[20:21], vcc, s[20:21]
	v_lshrrev_b32_e32 v3, 16, v3
	v_lshrrev_b32_e32 v26, 16, v26
	;; [unrolled: 1-line block ×3, first 2 shown]
	v_cmp_o_f32_e32 vcc, v24, v24
	v_cmp_o_f32_e64 s[0:1], v23, v23
	v_cmp_o_f32_e64 s[4:5], v25, v25
	v_cndmask_b32_e64 v24, v12, v28, s[2:3]
	v_lshl_add_u64 v[18:19], v[18:19], 1, s[12:13]
	v_lshl_add_u64 v[16:17], v[16:17], 1, s[12:13]
	;; [unrolled: 1-line block ×3, first 2 shown]
	v_cndmask_b32_e64 v3, v12, v3, s[4:5]
	v_cndmask_b32_e32 v22, v12, v26, vcc
	v_cndmask_b32_e64 v23, v12, v27, s[0:1]
	global_store_short v[20:21], v24, off
	global_store_short v[18:19], v23, off
	;; [unrolled: 1-line block ×4, first 2 shown]
	s_andn2_b64 exec, exec, s[20:21]
	s_cbranch_execnz .LBB78_3
; %bb.4:
	s_or_b64 exec, exec, s[20:21]
	v_mad_u64_u32 v[2:3], s[0:1], v11, s6, v[2:3]
	v_cmp_ne_u32_e32 vcc, v10, v11
	s_orn2_b64 s[0:1], vcc, exec
.LBB78_5:
	s_or_b64 exec, exec, s[14:15]
	s_and_b64 exec, exec, s[0:1]
	s_cbranch_execz .LBB78_8
; %bb.6:
	v_ashrrev_i32_e32 v3, 31, v2
	s_ashr_i32 s7, s6, 31
	v_lshl_add_u64 v[0:1], v[2:3], 1, s[12:13]
	s_lshl_b64 s[0:1], s[6:7], 1
	s_mov_b64 s[2:3], 0
	v_mov_b32_e32 v3, s9
	s_movk_i32 s4, 0x7fff
	v_mov_b32_e32 v4, 0x7fc0
.LBB78_7:                               ; =>This Inner Loop Header: Depth=1
	v_cvt_f32_i32_e32 v5, v2
	v_add_u32_e32 v2, s6, v2
	v_cmp_le_i32_e32 vcc, s8, v2
	s_or_b64 s[2:3], vcc, s[2:3]
	v_fma_f32 v5, s10, v5, v3
	v_bfe_u32 v6, v5, 16, 1
	v_cmp_o_f32_e32 vcc, v5, v5
	v_add3_u32 v5, v5, v6, s4
	s_nop 0
	v_cndmask_b32_sdwa v5, v4, v5, vcc dst_sel:DWORD dst_unused:UNUSED_PAD src0_sel:DWORD src1_sel:WORD_1
	global_store_short v[0:1], v5, off
	v_lshl_add_u64 v[0:1], v[0:1], 0, s[0:1]
	s_andn2_b64 exec, exec, s[2:3]
	s_cbranch_execnz .LBB78_7
.LBB78_8:
	s_endpgm
	.section	.rodata,"a",@progbits
	.p2align	6, 0x0
	.amdhsa_kernel _ZN12_GLOBAL__N_141elementwise_kernel_with_index_grid_strideIiZZZN2at6native15arange_cuda_outERKN3c106ScalarES6_S6_RNS1_6TensorEENKUlvE_clEvENKUlvE7_clEvEUllE_EEvT_T0_PN15function_traitsISD_E11result_typeE
		.amdhsa_group_segment_fixed_size 0
		.amdhsa_private_segment_fixed_size 0
		.amdhsa_kernarg_size 280
		.amdhsa_user_sgpr_count 2
		.amdhsa_user_sgpr_dispatch_ptr 0
		.amdhsa_user_sgpr_queue_ptr 0
		.amdhsa_user_sgpr_kernarg_segment_ptr 1
		.amdhsa_user_sgpr_dispatch_id 0
		.amdhsa_user_sgpr_kernarg_preload_length 0
		.amdhsa_user_sgpr_kernarg_preload_offset 0
		.amdhsa_user_sgpr_private_segment_size 0
		.amdhsa_uses_dynamic_stack 0
		.amdhsa_enable_private_segment 0
		.amdhsa_system_sgpr_workgroup_id_x 1
		.amdhsa_system_sgpr_workgroup_id_y 0
		.amdhsa_system_sgpr_workgroup_id_z 0
		.amdhsa_system_sgpr_workgroup_info 0
		.amdhsa_system_vgpr_workitem_id 0
		.amdhsa_next_free_vgpr 29
		.amdhsa_next_free_sgpr 25
		.amdhsa_accum_offset 32
		.amdhsa_reserve_vcc 1
		.amdhsa_float_round_mode_32 0
		.amdhsa_float_round_mode_16_64 0
		.amdhsa_float_denorm_mode_32 3
		.amdhsa_float_denorm_mode_16_64 3
		.amdhsa_dx10_clamp 1
		.amdhsa_ieee_mode 1
		.amdhsa_fp16_overflow 0
		.amdhsa_tg_split 0
		.amdhsa_exception_fp_ieee_invalid_op 0
		.amdhsa_exception_fp_denorm_src 0
		.amdhsa_exception_fp_ieee_div_zero 0
		.amdhsa_exception_fp_ieee_overflow 0
		.amdhsa_exception_fp_ieee_underflow 0
		.amdhsa_exception_fp_ieee_inexact 0
		.amdhsa_exception_int_div_zero 0
	.end_amdhsa_kernel
	.section	.text._ZN12_GLOBAL__N_141elementwise_kernel_with_index_grid_strideIiZZZN2at6native15arange_cuda_outERKN3c106ScalarES6_S6_RNS1_6TensorEENKUlvE_clEvENKUlvE7_clEvEUllE_EEvT_T0_PN15function_traitsISD_E11result_typeE,"axG",@progbits,_ZN12_GLOBAL__N_141elementwise_kernel_with_index_grid_strideIiZZZN2at6native15arange_cuda_outERKN3c106ScalarES6_S6_RNS1_6TensorEENKUlvE_clEvENKUlvE7_clEvEUllE_EEvT_T0_PN15function_traitsISD_E11result_typeE,comdat
.Lfunc_end78:
	.size	_ZN12_GLOBAL__N_141elementwise_kernel_with_index_grid_strideIiZZZN2at6native15arange_cuda_outERKN3c106ScalarES6_S6_RNS1_6TensorEENKUlvE_clEvENKUlvE7_clEvEUllE_EEvT_T0_PN15function_traitsISD_E11result_typeE, .Lfunc_end78-_ZN12_GLOBAL__N_141elementwise_kernel_with_index_grid_strideIiZZZN2at6native15arange_cuda_outERKN3c106ScalarES6_S6_RNS1_6TensorEENKUlvE_clEvENKUlvE7_clEvEUllE_EEvT_T0_PN15function_traitsISD_E11result_typeE
                                        ; -- End function
	.set _ZN12_GLOBAL__N_141elementwise_kernel_with_index_grid_strideIiZZZN2at6native15arange_cuda_outERKN3c106ScalarES6_S6_RNS1_6TensorEENKUlvE_clEvENKUlvE7_clEvEUllE_EEvT_T0_PN15function_traitsISD_E11result_typeE.num_vgpr, 29
	.set _ZN12_GLOBAL__N_141elementwise_kernel_with_index_grid_strideIiZZZN2at6native15arange_cuda_outERKN3c106ScalarES6_S6_RNS1_6TensorEENKUlvE_clEvENKUlvE7_clEvEUllE_EEvT_T0_PN15function_traitsISD_E11result_typeE.num_agpr, 0
	.set _ZN12_GLOBAL__N_141elementwise_kernel_with_index_grid_strideIiZZZN2at6native15arange_cuda_outERKN3c106ScalarES6_S6_RNS1_6TensorEENKUlvE_clEvENKUlvE7_clEvEUllE_EEvT_T0_PN15function_traitsISD_E11result_typeE.numbered_sgpr, 25
	.set _ZN12_GLOBAL__N_141elementwise_kernel_with_index_grid_strideIiZZZN2at6native15arange_cuda_outERKN3c106ScalarES6_S6_RNS1_6TensorEENKUlvE_clEvENKUlvE7_clEvEUllE_EEvT_T0_PN15function_traitsISD_E11result_typeE.num_named_barrier, 0
	.set _ZN12_GLOBAL__N_141elementwise_kernel_with_index_grid_strideIiZZZN2at6native15arange_cuda_outERKN3c106ScalarES6_S6_RNS1_6TensorEENKUlvE_clEvENKUlvE7_clEvEUllE_EEvT_T0_PN15function_traitsISD_E11result_typeE.private_seg_size, 0
	.set _ZN12_GLOBAL__N_141elementwise_kernel_with_index_grid_strideIiZZZN2at6native15arange_cuda_outERKN3c106ScalarES6_S6_RNS1_6TensorEENKUlvE_clEvENKUlvE7_clEvEUllE_EEvT_T0_PN15function_traitsISD_E11result_typeE.uses_vcc, 1
	.set _ZN12_GLOBAL__N_141elementwise_kernel_with_index_grid_strideIiZZZN2at6native15arange_cuda_outERKN3c106ScalarES6_S6_RNS1_6TensorEENKUlvE_clEvENKUlvE7_clEvEUllE_EEvT_T0_PN15function_traitsISD_E11result_typeE.uses_flat_scratch, 0
	.set _ZN12_GLOBAL__N_141elementwise_kernel_with_index_grid_strideIiZZZN2at6native15arange_cuda_outERKN3c106ScalarES6_S6_RNS1_6TensorEENKUlvE_clEvENKUlvE7_clEvEUllE_EEvT_T0_PN15function_traitsISD_E11result_typeE.has_dyn_sized_stack, 0
	.set _ZN12_GLOBAL__N_141elementwise_kernel_with_index_grid_strideIiZZZN2at6native15arange_cuda_outERKN3c106ScalarES6_S6_RNS1_6TensorEENKUlvE_clEvENKUlvE7_clEvEUllE_EEvT_T0_PN15function_traitsISD_E11result_typeE.has_recursion, 0
	.set _ZN12_GLOBAL__N_141elementwise_kernel_with_index_grid_strideIiZZZN2at6native15arange_cuda_outERKN3c106ScalarES6_S6_RNS1_6TensorEENKUlvE_clEvENKUlvE7_clEvEUllE_EEvT_T0_PN15function_traitsISD_E11result_typeE.has_indirect_call, 0
	.section	.AMDGPU.csdata,"",@progbits
; Kernel info:
; codeLenInByte = 828
; TotalNumSgprs: 31
; NumVgprs: 29
; NumAgprs: 0
; TotalNumVgprs: 29
; ScratchSize: 0
; MemoryBound: 0
; FloatMode: 240
; IeeeMode: 1
; LDSByteSize: 0 bytes/workgroup (compile time only)
; SGPRBlocks: 3
; VGPRBlocks: 3
; NumSGPRsForWavesPerEU: 31
; NumVGPRsForWavesPerEU: 29
; AccumOffset: 32
; Occupancy: 8
; WaveLimiterHint : 0
; COMPUTE_PGM_RSRC2:SCRATCH_EN: 0
; COMPUTE_PGM_RSRC2:USER_SGPR: 2
; COMPUTE_PGM_RSRC2:TRAP_HANDLER: 0
; COMPUTE_PGM_RSRC2:TGID_X_EN: 1
; COMPUTE_PGM_RSRC2:TGID_Y_EN: 0
; COMPUTE_PGM_RSRC2:TGID_Z_EN: 0
; COMPUTE_PGM_RSRC2:TIDIG_COMP_CNT: 0
; COMPUTE_PGM_RSRC3_GFX90A:ACCUM_OFFSET: 7
; COMPUTE_PGM_RSRC3_GFX90A:TG_SPLIT: 0
	.section	.text._ZN12_GLOBAL__N_141elementwise_kernel_with_index_grid_strideIlZZZN2at6native15arange_cuda_outERKN3c106ScalarES6_S6_RNS1_6TensorEENKUlvE_clEvENKUlvE7_clEvEUllE_EEvT_T0_PN15function_traitsISD_E11result_typeE,"axG",@progbits,_ZN12_GLOBAL__N_141elementwise_kernel_with_index_grid_strideIlZZZN2at6native15arange_cuda_outERKN3c106ScalarES6_S6_RNS1_6TensorEENKUlvE_clEvENKUlvE7_clEvEUllE_EEvT_T0_PN15function_traitsISD_E11result_typeE,comdat
	.globl	_ZN12_GLOBAL__N_141elementwise_kernel_with_index_grid_strideIlZZZN2at6native15arange_cuda_outERKN3c106ScalarES6_S6_RNS1_6TensorEENKUlvE_clEvENKUlvE7_clEvEUllE_EEvT_T0_PN15function_traitsISD_E11result_typeE ; -- Begin function _ZN12_GLOBAL__N_141elementwise_kernel_with_index_grid_strideIlZZZN2at6native15arange_cuda_outERKN3c106ScalarES6_S6_RNS1_6TensorEENKUlvE_clEvENKUlvE7_clEvEUllE_EEvT_T0_PN15function_traitsISD_E11result_typeE
	.p2align	8
	.type	_ZN12_GLOBAL__N_141elementwise_kernel_with_index_grid_strideIlZZZN2at6native15arange_cuda_outERKN3c106ScalarES6_S6_RNS1_6TensorEENKUlvE_clEvENKUlvE7_clEvEUllE_EEvT_T0_PN15function_traitsISD_E11result_typeE,@function
_ZN12_GLOBAL__N_141elementwise_kernel_with_index_grid_strideIlZZZN2at6native15arange_cuda_outERKN3c106ScalarES6_S6_RNS1_6TensorEENKUlvE_clEvENKUlvE7_clEvEUllE_EEvT_T0_PN15function_traitsISD_E11result_typeE: ; @_ZN12_GLOBAL__N_141elementwise_kernel_with_index_grid_strideIlZZZN2at6native15arange_cuda_outERKN3c106ScalarES6_S6_RNS1_6TensorEENKUlvE_clEvENKUlvE7_clEvEUllE_EEvT_T0_PN15function_traitsISD_E11result_typeE
; %bb.0:
	s_load_dword s3, s[0:1], 0x24
	s_load_dwordx2 s[6:7], s[0:1], 0x0
	s_add_u32 s4, s0, 24
	s_addc_u32 s5, s1, 0
	v_mov_b32_e32 v1, 0
	s_waitcnt lgkmcnt(0)
	s_and_b32 s3, s3, 0xffff
	v_mov_b32_e32 v2, s2
	v_mad_u64_u32 v[2:3], s[8:9], s3, v2, v[0:1]
	v_cmp_gt_i64_e32 vcc, s[6:7], v[2:3]
	s_and_saveexec_b64 s[8:9], vcc
	s_cbranch_execz .LBB79_14
; %bb.1:
	s_load_dword s4, s[4:5], 0x0
	v_mov_b32_e32 v4, s3
	s_mov_b32 s5, 0
	v_mov_b32_e32 v5, s5
	s_load_dwordx2 s[8:9], s[0:1], 0x8
	s_waitcnt lgkmcnt(0)
	s_add_u32 s2, s2, s4
	s_mul_hi_u32 s11, s3, s4
	s_mul_i32 s10, s3, s4
	s_addc_u32 s4, 0, 0
	s_mul_i32 s4, s4, s3
	v_mad_u64_u32 v[6:7], s[2:3], s2, v4, v[0:1]
	v_add_u32_e32 v7, s4, v7
	v_cmp_gt_i64_e32 vcc, s[6:7], v[6:7]
	v_mov_b32_e32 v4, s6
	v_mov_b32_e32 v0, s7
	v_cndmask_b32_e32 v8, v6, v4, vcc
	v_cndmask_b32_e64 v4, 0, 1, vcc
	v_cndmask_b32_e32 v0, v7, v0, vcc
	v_lshl_add_u64 v[6:7], v[6:7], 0, v[4:5]
	v_sub_co_u32_e32 v6, vcc, v8, v6
	v_mov_b32_e32 v8, v1
	s_nop 0
	v_subb_co_u32_e32 v7, vcc, v0, v7, vcc
	v_or_b32_e32 v9, s11, v7
	v_cmp_ne_u64_e32 vcc, 0, v[8:9]
                                        ; implicit-def: $vgpr0_vgpr1
	s_and_saveexec_b64 s[2:3], vcc
	s_xor_b64 s[4:5], exec, s[2:3]
	s_cbranch_execz .LBB79_3
; %bb.2:
	v_cvt_f32_u32_e32 v0, s10
	v_cvt_f32_u32_e32 v1, s11
	s_sub_u32 s12, 0, s10
	s_subb_u32 s13, 0, s11
	v_mov_b32_e32 v9, 0
	v_fmamk_f32 v0, v1, 0x4f800000, v0
	v_rcp_f32_e32 v0, v0
	s_nop 0
	v_mul_f32_e32 v0, 0x5f7ffffc, v0
	v_mul_f32_e32 v1, 0x2f800000, v0
	v_trunc_f32_e32 v1, v1
	v_fmamk_f32 v0, v1, 0xcf800000, v0
	v_cvt_u32_f32_e32 v1, v1
	v_cvt_u32_f32_e32 v0, v0
	v_readfirstlane_b32 s14, v1
	v_readfirstlane_b32 s2, v0
	s_mul_i32 s3, s12, s14
	s_mul_hi_u32 s16, s12, s2
	s_mul_i32 s15, s13, s2
	s_add_i32 s3, s16, s3
	s_mul_i32 s17, s12, s2
	s_add_i32 s3, s3, s15
	s_mul_i32 s16, s2, s3
	s_mul_hi_u32 s18, s2, s17
	s_mul_hi_u32 s15, s2, s3
	s_add_u32 s16, s18, s16
	s_addc_u32 s15, 0, s15
	s_mul_hi_u32 s19, s14, s17
	s_mul_i32 s17, s14, s17
	s_add_u32 s16, s16, s17
	s_mul_hi_u32 s18, s14, s3
	s_addc_u32 s15, s15, s19
	s_addc_u32 s16, s18, 0
	s_mul_i32 s3, s14, s3
	s_add_u32 s3, s15, s3
	s_addc_u32 s15, 0, s16
	s_add_u32 s16, s2, s3
	s_cselect_b64 s[2:3], -1, 0
	s_cmp_lg_u64 s[2:3], 0
	s_addc_u32 s14, s14, s15
	s_mul_i32 s2, s12, s14
	s_mul_hi_u32 s3, s12, s16
	s_add_i32 s2, s3, s2
	s_mul_i32 s13, s13, s16
	s_add_i32 s2, s2, s13
	s_mul_i32 s12, s12, s16
	s_mul_hi_u32 s13, s14, s12
	s_mul_i32 s15, s14, s12
	s_mul_i32 s18, s16, s2
	s_mul_hi_u32 s12, s16, s12
	s_mul_hi_u32 s17, s16, s2
	s_add_u32 s12, s12, s18
	s_addc_u32 s17, 0, s17
	s_add_u32 s12, s12, s15
	s_mul_hi_u32 s3, s14, s2
	s_addc_u32 s12, s17, s13
	s_addc_u32 s3, s3, 0
	s_mul_i32 s2, s14, s2
	s_add_u32 s2, s12, s2
	s_addc_u32 s12, 0, s3
	s_add_u32 s13, s16, s2
	s_cselect_b64 s[2:3], -1, 0
	s_cmp_lg_u64 s[2:3], 0
	s_addc_u32 s12, s14, s12
	v_mad_u64_u32 v[0:1], s[2:3], v6, s12, 0
	v_mul_hi_u32 v8, v6, s13
	v_lshl_add_u64 v[0:1], v[8:9], 0, v[0:1]
	v_mad_u64_u32 v[12:13], s[2:3], v7, s13, 0
	v_add_co_u32_e32 v0, vcc, v0, v12
	v_mad_u64_u32 v[10:11], s[2:3], v7, s12, 0
	s_nop 0
	v_addc_co_u32_e32 v8, vcc, v1, v13, vcc
	s_nop 1
	v_addc_co_u32_e32 v11, vcc, 0, v11, vcc
	v_lshl_add_u64 v[0:1], v[8:9], 0, v[10:11]
	v_mul_lo_u32 v10, s11, v0
	v_mul_lo_u32 v11, s10, v1
	v_mad_u64_u32 v[8:9], s[2:3], s10, v0, 0
	v_add3_u32 v12, v9, v11, v10
	v_sub_u32_e32 v9, v7, v12
	v_mov_b32_e32 v10, s11
	v_sub_co_u32_e32 v6, vcc, v6, v8
	s_nop 1
	v_subb_co_u32_e64 v8, s[2:3], v9, v10, vcc
	v_subrev_co_u32_e64 v9, s[2:3], s10, v6
	v_subb_co_u32_e32 v7, vcc, v7, v12, vcc
	s_nop 0
	v_subbrev_co_u32_e64 v8, s[2:3], 0, v8, s[2:3]
	v_cmp_le_u32_e64 s[2:3], s11, v8
	v_cmp_le_u32_e32 vcc, s11, v7
	s_nop 0
	v_cndmask_b32_e64 v10, 0, -1, s[2:3]
	v_cmp_le_u32_e64 s[2:3], s10, v9
	s_nop 1
	v_cndmask_b32_e64 v9, 0, -1, s[2:3]
	v_cmp_eq_u32_e64 s[2:3], s11, v8
	s_nop 1
	v_cndmask_b32_e64 v13, v10, v9, s[2:3]
	v_lshl_add_u64 v[8:9], v[0:1], 0, 2
	v_lshl_add_u64 v[10:11], v[0:1], 0, 1
	v_cmp_ne_u32_e64 s[2:3], 0, v13
	s_nop 1
	v_cndmask_b32_e64 v9, v11, v9, s[2:3]
	v_cndmask_b32_e64 v11, 0, -1, vcc
	v_cmp_le_u32_e32 vcc, s10, v6
	s_nop 1
	v_cndmask_b32_e64 v6, 0, -1, vcc
	v_cmp_eq_u32_e32 vcc, s11, v7
	s_nop 1
	v_cndmask_b32_e32 v6, v11, v6, vcc
	v_cmp_ne_u32_e32 vcc, 0, v6
	v_cndmask_b32_e64 v6, v10, v8, s[2:3]
	s_nop 0
	v_cndmask_b32_e32 v1, v1, v9, vcc
	v_cndmask_b32_e32 v0, v0, v6, vcc
                                        ; implicit-def: $vgpr6
.LBB79_3:
	s_andn2_saveexec_b64 s[2:3], s[4:5]
	s_cbranch_execz .LBB79_5
; %bb.4:
	v_cvt_f32_u32_e32 v0, s10
	s_sub_i32 s4, 0, s10
	v_rcp_iflag_f32_e32 v0, v0
	s_nop 0
	v_mul_f32_e32 v0, 0x4f7ffffe, v0
	v_cvt_u32_f32_e32 v0, v0
	v_mul_lo_u32 v1, s4, v0
	v_mul_hi_u32 v1, v0, v1
	v_add_u32_e32 v0, v0, v1
	v_mul_hi_u32 v0, v6, v0
	v_mul_lo_u32 v1, v0, s10
	v_sub_u32_e32 v1, v6, v1
	v_add_u32_e32 v7, 1, v0
	v_subrev_u32_e32 v6, s10, v1
	v_cmp_le_u32_e32 vcc, s10, v1
	s_nop 1
	v_cndmask_b32_e32 v1, v1, v6, vcc
	v_cndmask_b32_e32 v0, v0, v7, vcc
	v_add_u32_e32 v6, 1, v0
	v_cmp_le_u32_e32 vcc, s10, v1
	v_mov_b32_e32 v1, 0
	s_nop 0
	v_cndmask_b32_e32 v0, v0, v6, vcc
.LBB79_5:
	s_or_b64 exec, exec, s[2:3]
	s_load_dwordx2 s[12:13], s[0:1], 0x10
	v_lshl_add_u64 v[0:1], v[0:1], 0, v[4:5]
	v_lshl_add_u64 v[0:1], v[0:1], 0, 1
	v_cmp_lt_u64_e32 vcc, 3, v[0:1]
	s_mov_b64 s[0:1], 0
                                        ; implicit-def: $vgpr4_vgpr5
	s_and_saveexec_b64 s[2:3], vcc
	s_xor_b64 s[14:15], exec, s[2:3]
	s_cbranch_execnz .LBB79_8
; %bb.6:
	s_andn2_saveexec_b64 s[2:3], s[14:15]
	s_cbranch_execnz .LBB79_11
.LBB79_7:
	s_or_b64 exec, exec, s[2:3]
	s_and_b64 exec, exec, s[0:1]
	s_cbranch_execnz .LBB79_12
	s_branch .LBB79_14
.LBB79_8:
	v_mad_u64_u32 v[8:9], s[2:3], s10, 3, v[2:3]
	v_mov_b32_e32 v10, v9
	v_mad_u64_u32 v[6:7], s[2:3], s10, 2, v[2:3]
	v_mad_u64_u32 v[4:5], s[2:3], s10, 1, v[2:3]
	;; [unrolled: 1-line block ×3, first 2 shown]
	v_lshl_add_u32 v7, s11, 1, v7
	v_add_u32_e32 v5, s11, v5
	v_mov_b32_e32 v9, v10
	v_and_b32_e32 v12, -4, v0
	v_mov_b32_e32 v13, v1
	s_mov_b32 s0, s8
	s_mov_b32 s1, s8
	s_lshl_b64 s[22:23], s[10:11], 2
	s_mul_i32 s2, s11, 6
	s_mul_hi_u32 s3, s10, 6
	v_mov_b64_e32 v[10:11], v[8:9]
	s_mov_b32 s16, s9
	s_mov_b32 s17, s9
	;; [unrolled: 1-line block ×10, first 2 shown]
	s_lshl_b64 s[20:21], s[10:11], 1
	s_add_i32 s31, s3, s2
	s_mul_i32 s30, s10, 6
	s_waitcnt lgkmcnt(0)
	v_lshl_add_u64 v[14:15], v[2:3], 1, s[12:13]
	s_lshl_b64 s[36:37], s[10:11], 3
	s_mov_b64 s[34:35], 0
	v_mov_b32_e32 v16, s8
	v_mov_b32_e32 v17, s8
	v_mov_b64_e32 v[18:19], s[0:1]
	s_movk_i32 s33, 0x7fff
	v_mov_b32_e32 v22, 0x7fc0
	v_mov_b64_e32 v[20:21], v[12:13]
	v_mov_b64_e32 v[8:9], v[6:7]
	;; [unrolled: 1-line block ×4, first 2 shown]
.LBB79_9:                               ; =>This Inner Loop Header: Depth=1
	v_ffbh_u32_e32 v23, v7
	v_ffbh_u32_e32 v30, v5
	v_ffbh_u32_e32 v31, v11
	v_ffbh_u32_e32 v32, v9
	v_min_u32_e32 v23, 32, v23
	v_min_u32_e32 v34, 32, v30
	v_min_u32_e32 v36, 32, v31
	v_min_u32_e32 v38, 32, v32
	v_lshlrev_b64 v[30:31], v23, v[6:7]
	v_lshlrev_b64 v[32:33], v34, v[4:5]
	v_sub_u32_e32 v39, 32, v34
	v_lshlrev_b64 v[34:35], v36, v[10:11]
	v_sub_u32_e32 v40, 32, v36
	v_lshlrev_b64 v[36:37], v38, v[8:9]
	v_min_u32_e32 v30, 1, v30
	v_min_u32_e32 v32, 1, v32
	;; [unrolled: 1-line block ×4, first 2 shown]
	v_or_b32_e32 v30, v31, v30
	v_or_b32_e32 v31, v33, v32
	;; [unrolled: 1-line block ×4, first 2 shown]
	v_cvt_f32_u32_e32 v30, v30
	v_cvt_f32_u32_e32 v34, v31
	;; [unrolled: 1-line block ×4, first 2 shown]
	v_sub_u32_e32 v23, 32, v23
	v_sub_u32_e32 v38, 32, v38
	v_ldexp_f32 v31, v30, v23
	v_ldexp_f32 v30, v34, v39
	;; [unrolled: 1-line block ×4, first 2 shown]
	v_pk_fma_f32 v[30:31], s[16:17], v[30:31], v[18:19]
	v_pk_fma_f32 v[32:33], s[18:19], v[32:33], v[16:17]
	v_bfe_u32 v36, v30, 16, 1
	v_lshl_add_u64 v[20:21], v[20:21], 0, -4
	v_bfe_u32 v23, v33, 16, 1
	v_bfe_u32 v34, v32, 16, 1
	;; [unrolled: 1-line block ×3, first 2 shown]
	v_add3_u32 v36, v30, v36, s33
	v_cmp_eq_u64_e32 vcc, 0, v[20:21]
	v_add3_u32 v35, v31, v35, s33
	v_add3_u32 v34, v32, v34, s33
	;; [unrolled: 1-line block ×3, first 2 shown]
	v_lshrrev_b32_e32 v36, 16, v36
	v_cmp_o_f32_e64 s[2:3], v30, v30
	s_or_b64 s[34:35], vcc, s[34:35]
	v_lshrrev_b32_e32 v23, 16, v23
	v_lshrrev_b32_e32 v34, 16, v34
	;; [unrolled: 1-line block ×3, first 2 shown]
	v_cmp_o_f32_e32 vcc, v32, v32
	v_cmp_o_f32_e64 s[0:1], v31, v31
	v_cmp_o_f32_e64 s[4:5], v33, v33
	v_cndmask_b32_e64 v32, v22, v36, s[2:3]
	v_lshl_add_u64 v[24:25], v[14:15], 0, s[20:21]
	v_lshl_add_u64 v[26:27], v[14:15], 0, s[22:23]
	;; [unrolled: 1-line block ×7, first 2 shown]
	v_cndmask_b32_e64 v23, v22, v23, s[4:5]
	v_cndmask_b32_e32 v30, v22, v34, vcc
	v_cndmask_b32_e64 v31, v22, v35, s[0:1]
	global_store_short v[14:15], v32, off
	global_store_short v[24:25], v31, off
	;; [unrolled: 1-line block ×4, first 2 shown]
	v_lshl_add_u64 v[14:15], v[14:15], 0, s[36:37]
	s_andn2_b64 exec, exec, s[34:35]
	s_cbranch_execnz .LBB79_9
; %bb.10:
	s_or_b64 exec, exec, s[34:35]
	v_mad_u64_u32 v[2:3], s[0:1], v12, s10, v[2:3]
	v_mul_lo_u32 v4, v12, s11
	v_mul_lo_u32 v5, v13, s10
	v_cmp_ne_u64_e32 vcc, v[0:1], v[12:13]
	v_add3_u32 v3, v5, v3, v4
	v_mov_b64_e32 v[4:5], s[20:21]
	s_and_b64 s[0:1], vcc, exec
	s_andn2_saveexec_b64 s[2:3], s[14:15]
	s_cbranch_execz .LBB79_7
.LBB79_11:
	s_lshl_b64 s[4:5], s[10:11], 1
	v_mov_b64_e32 v[4:5], s[4:5]
	s_or_b64 s[0:1], s[0:1], exec
	s_or_b64 exec, exec, s[2:3]
	s_and_b64 exec, exec, s[0:1]
	s_cbranch_execz .LBB79_14
.LBB79_12:
	s_waitcnt lgkmcnt(0)
	v_lshl_add_u64 v[0:1], v[2:3], 1, s[12:13]
	s_mov_b64 s[0:1], 0
	v_mov_b32_e32 v6, s8
	s_movk_i32 s2, 0x7fff
	v_mov_b32_e32 v7, 0x7fc0
.LBB79_13:                              ; =>This Inner Loop Header: Depth=1
	v_ffbh_u32_e32 v8, v3
	v_min_u32_e32 v10, 32, v8
	v_lshlrev_b64 v[8:9], v10, v[2:3]
	v_min_u32_e32 v8, 1, v8
	v_or_b32_e32 v8, v9, v8
	v_cvt_f32_u32_e32 v8, v8
	v_sub_u32_e32 v10, 32, v10
	v_lshl_add_u64 v[2:3], v[2:3], 0, s[10:11]
	v_cmp_le_i64_e32 vcc, s[6:7], v[2:3]
	v_ldexp_f32 v8, v8, v10
	v_fma_f32 v8, s9, v8, v6
	v_bfe_u32 v9, v8, 16, 1
	s_or_b64 s[0:1], vcc, s[0:1]
	v_cmp_o_f32_e32 vcc, v8, v8
	v_add3_u32 v8, v8, v9, s2
	s_nop 0
	v_cndmask_b32_sdwa v8, v7, v8, vcc dst_sel:DWORD dst_unused:UNUSED_PAD src0_sel:DWORD src1_sel:WORD_1
	global_store_short v[0:1], v8, off
	v_lshl_add_u64 v[0:1], v[0:1], 0, v[4:5]
	s_andn2_b64 exec, exec, s[0:1]
	s_cbranch_execnz .LBB79_13
.LBB79_14:
	s_endpgm
	.section	.rodata,"a",@progbits
	.p2align	6, 0x0
	.amdhsa_kernel _ZN12_GLOBAL__N_141elementwise_kernel_with_index_grid_strideIlZZZN2at6native15arange_cuda_outERKN3c106ScalarES6_S6_RNS1_6TensorEENKUlvE_clEvENKUlvE7_clEvEUllE_EEvT_T0_PN15function_traitsISD_E11result_typeE
		.amdhsa_group_segment_fixed_size 0
		.amdhsa_private_segment_fixed_size 0
		.amdhsa_kernarg_size 280
		.amdhsa_user_sgpr_count 2
		.amdhsa_user_sgpr_dispatch_ptr 0
		.amdhsa_user_sgpr_queue_ptr 0
		.amdhsa_user_sgpr_kernarg_segment_ptr 1
		.amdhsa_user_sgpr_dispatch_id 0
		.amdhsa_user_sgpr_kernarg_preload_length 0
		.amdhsa_user_sgpr_kernarg_preload_offset 0
		.amdhsa_user_sgpr_private_segment_size 0
		.amdhsa_uses_dynamic_stack 0
		.amdhsa_enable_private_segment 0
		.amdhsa_system_sgpr_workgroup_id_x 1
		.amdhsa_system_sgpr_workgroup_id_y 0
		.amdhsa_system_sgpr_workgroup_id_z 0
		.amdhsa_system_sgpr_workgroup_info 0
		.amdhsa_system_vgpr_workitem_id 0
		.amdhsa_next_free_vgpr 41
		.amdhsa_next_free_sgpr 38
		.amdhsa_accum_offset 44
		.amdhsa_reserve_vcc 1
		.amdhsa_float_round_mode_32 0
		.amdhsa_float_round_mode_16_64 0
		.amdhsa_float_denorm_mode_32 3
		.amdhsa_float_denorm_mode_16_64 3
		.amdhsa_dx10_clamp 1
		.amdhsa_ieee_mode 1
		.amdhsa_fp16_overflow 0
		.amdhsa_tg_split 0
		.amdhsa_exception_fp_ieee_invalid_op 0
		.amdhsa_exception_fp_denorm_src 0
		.amdhsa_exception_fp_ieee_div_zero 0
		.amdhsa_exception_fp_ieee_overflow 0
		.amdhsa_exception_fp_ieee_underflow 0
		.amdhsa_exception_fp_ieee_inexact 0
		.amdhsa_exception_int_div_zero 0
	.end_amdhsa_kernel
	.section	.text._ZN12_GLOBAL__N_141elementwise_kernel_with_index_grid_strideIlZZZN2at6native15arange_cuda_outERKN3c106ScalarES6_S6_RNS1_6TensorEENKUlvE_clEvENKUlvE7_clEvEUllE_EEvT_T0_PN15function_traitsISD_E11result_typeE,"axG",@progbits,_ZN12_GLOBAL__N_141elementwise_kernel_with_index_grid_strideIlZZZN2at6native15arange_cuda_outERKN3c106ScalarES6_S6_RNS1_6TensorEENKUlvE_clEvENKUlvE7_clEvEUllE_EEvT_T0_PN15function_traitsISD_E11result_typeE,comdat
.Lfunc_end79:
	.size	_ZN12_GLOBAL__N_141elementwise_kernel_with_index_grid_strideIlZZZN2at6native15arange_cuda_outERKN3c106ScalarES6_S6_RNS1_6TensorEENKUlvE_clEvENKUlvE7_clEvEUllE_EEvT_T0_PN15function_traitsISD_E11result_typeE, .Lfunc_end79-_ZN12_GLOBAL__N_141elementwise_kernel_with_index_grid_strideIlZZZN2at6native15arange_cuda_outERKN3c106ScalarES6_S6_RNS1_6TensorEENKUlvE_clEvENKUlvE7_clEvEUllE_EEvT_T0_PN15function_traitsISD_E11result_typeE
                                        ; -- End function
	.set _ZN12_GLOBAL__N_141elementwise_kernel_with_index_grid_strideIlZZZN2at6native15arange_cuda_outERKN3c106ScalarES6_S6_RNS1_6TensorEENKUlvE_clEvENKUlvE7_clEvEUllE_EEvT_T0_PN15function_traitsISD_E11result_typeE.num_vgpr, 41
	.set _ZN12_GLOBAL__N_141elementwise_kernel_with_index_grid_strideIlZZZN2at6native15arange_cuda_outERKN3c106ScalarES6_S6_RNS1_6TensorEENKUlvE_clEvENKUlvE7_clEvEUllE_EEvT_T0_PN15function_traitsISD_E11result_typeE.num_agpr, 0
	.set _ZN12_GLOBAL__N_141elementwise_kernel_with_index_grid_strideIlZZZN2at6native15arange_cuda_outERKN3c106ScalarES6_S6_RNS1_6TensorEENKUlvE_clEvENKUlvE7_clEvEUllE_EEvT_T0_PN15function_traitsISD_E11result_typeE.numbered_sgpr, 38
	.set _ZN12_GLOBAL__N_141elementwise_kernel_with_index_grid_strideIlZZZN2at6native15arange_cuda_outERKN3c106ScalarES6_S6_RNS1_6TensorEENKUlvE_clEvENKUlvE7_clEvEUllE_EEvT_T0_PN15function_traitsISD_E11result_typeE.num_named_barrier, 0
	.set _ZN12_GLOBAL__N_141elementwise_kernel_with_index_grid_strideIlZZZN2at6native15arange_cuda_outERKN3c106ScalarES6_S6_RNS1_6TensorEENKUlvE_clEvENKUlvE7_clEvEUllE_EEvT_T0_PN15function_traitsISD_E11result_typeE.private_seg_size, 0
	.set _ZN12_GLOBAL__N_141elementwise_kernel_with_index_grid_strideIlZZZN2at6native15arange_cuda_outERKN3c106ScalarES6_S6_RNS1_6TensorEENKUlvE_clEvENKUlvE7_clEvEUllE_EEvT_T0_PN15function_traitsISD_E11result_typeE.uses_vcc, 1
	.set _ZN12_GLOBAL__N_141elementwise_kernel_with_index_grid_strideIlZZZN2at6native15arange_cuda_outERKN3c106ScalarES6_S6_RNS1_6TensorEENKUlvE_clEvENKUlvE7_clEvEUllE_EEvT_T0_PN15function_traitsISD_E11result_typeE.uses_flat_scratch, 0
	.set _ZN12_GLOBAL__N_141elementwise_kernel_with_index_grid_strideIlZZZN2at6native15arange_cuda_outERKN3c106ScalarES6_S6_RNS1_6TensorEENKUlvE_clEvENKUlvE7_clEvEUllE_EEvT_T0_PN15function_traitsISD_E11result_typeE.has_dyn_sized_stack, 0
	.set _ZN12_GLOBAL__N_141elementwise_kernel_with_index_grid_strideIlZZZN2at6native15arange_cuda_outERKN3c106ScalarES6_S6_RNS1_6TensorEENKUlvE_clEvENKUlvE7_clEvEUllE_EEvT_T0_PN15function_traitsISD_E11result_typeE.has_recursion, 0
	.set _ZN12_GLOBAL__N_141elementwise_kernel_with_index_grid_strideIlZZZN2at6native15arange_cuda_outERKN3c106ScalarES6_S6_RNS1_6TensorEENKUlvE_clEvENKUlvE7_clEvEUllE_EEvT_T0_PN15function_traitsISD_E11result_typeE.has_indirect_call, 0
	.section	.AMDGPU.csdata,"",@progbits
; Kernel info:
; codeLenInByte = 1836
; TotalNumSgprs: 44
; NumVgprs: 41
; NumAgprs: 0
; TotalNumVgprs: 41
; ScratchSize: 0
; MemoryBound: 0
; FloatMode: 240
; IeeeMode: 1
; LDSByteSize: 0 bytes/workgroup (compile time only)
; SGPRBlocks: 5
; VGPRBlocks: 5
; NumSGPRsForWavesPerEU: 44
; NumVGPRsForWavesPerEU: 41
; AccumOffset: 44
; Occupancy: 8
; WaveLimiterHint : 0
; COMPUTE_PGM_RSRC2:SCRATCH_EN: 0
; COMPUTE_PGM_RSRC2:USER_SGPR: 2
; COMPUTE_PGM_RSRC2:TRAP_HANDLER: 0
; COMPUTE_PGM_RSRC2:TGID_X_EN: 1
; COMPUTE_PGM_RSRC2:TGID_Y_EN: 0
; COMPUTE_PGM_RSRC2:TGID_Z_EN: 0
; COMPUTE_PGM_RSRC2:TIDIG_COMP_CNT: 0
; COMPUTE_PGM_RSRC3_GFX90A:ACCUM_OFFSET: 10
; COMPUTE_PGM_RSRC3_GFX90A:TG_SPLIT: 0
	.text
	.p2alignl 6, 3212836864
	.fill 256, 4, 3212836864
	.section	.AMDGPU.gpr_maximums,"",@progbits
	.set amdgpu.max_num_vgpr, 36
	.set amdgpu.max_num_agpr, 0
	.set amdgpu.max_num_sgpr, 43
	.text
	.type	__hip_cuid_ed1928b1a1ea325f,@object ; @__hip_cuid_ed1928b1a1ea325f
	.section	.bss,"aw",@nobits
	.globl	__hip_cuid_ed1928b1a1ea325f
__hip_cuid_ed1928b1a1ea325f:
	.byte	0                               ; 0x0
	.size	__hip_cuid_ed1928b1a1ea325f, 1

	.ident	"AMD clang version 22.0.0git (https://github.com/RadeonOpenCompute/llvm-project roc-7.2.4 26084 f58b06dce1f9c15707c5f808fd002e18c2accf7e)"
	.section	".note.GNU-stack","",@progbits
	.addrsig
	.addrsig_sym __hip_cuid_ed1928b1a1ea325f
	.amdgpu_metadata
---
amdhsa.kernels:
  - .agpr_count:     0
    .args:
      - .offset:         0
        .size:           4
        .value_kind:     by_value
      - .offset:         8
        .size:           32
        .value_kind:     by_value
      - .address_space:  global
        .offset:         40
        .size:           8
        .value_kind:     global_buffer
      - .offset:         48
        .size:           4
        .value_kind:     hidden_block_count_x
      - .offset:         52
        .size:           4
        .value_kind:     hidden_block_count_y
      - .offset:         56
        .size:           4
        .value_kind:     hidden_block_count_z
      - .offset:         60
        .size:           2
        .value_kind:     hidden_group_size_x
      - .offset:         62
        .size:           2
        .value_kind:     hidden_group_size_y
      - .offset:         64
        .size:           2
        .value_kind:     hidden_group_size_z
      - .offset:         66
        .size:           2
        .value_kind:     hidden_remainder_x
      - .offset:         68
        .size:           2
        .value_kind:     hidden_remainder_y
      - .offset:         70
        .size:           2
        .value_kind:     hidden_remainder_z
      - .offset:         88
        .size:           8
        .value_kind:     hidden_global_offset_x
      - .offset:         96
        .size:           8
        .value_kind:     hidden_global_offset_y
      - .offset:         104
        .size:           8
        .value_kind:     hidden_global_offset_z
      - .offset:         112
        .size:           2
        .value_kind:     hidden_grid_dims
    .group_segment_fixed_size: 0
    .kernarg_segment_align: 8
    .kernarg_segment_size: 304
    .language:       OpenCL C
    .language_version:
      - 2
      - 0
    .max_flat_workgroup_size: 128
    .name:           _ZN12_GLOBAL__N_141elementwise_kernel_with_index_grid_strideIiZZZN2at6native17linspace_cuda_outERKN3c106ScalarES6_lRNS1_6TensorEENKUlvE_clEvENKUlvE_clEvEUllE_EEvT_T0_PN15function_traitsISD_E11result_typeE
    .private_segment_fixed_size: 0
    .sgpr_count:     49
    .sgpr_spill_count: 0
    .symbol:         _ZN12_GLOBAL__N_141elementwise_kernel_with_index_grid_strideIiZZZN2at6native17linspace_cuda_outERKN3c106ScalarES6_lRNS1_6TensorEENKUlvE_clEvENKUlvE_clEvEUllE_EEvT_T0_PN15function_traitsISD_E11result_typeE.kd
    .uniform_work_group_size: 1
    .uses_dynamic_stack: false
    .vgpr_count:     52
    .vgpr_spill_count: 0
    .wavefront_size: 64
  - .agpr_count:     0
    .args:
      - .offset:         0
        .size:           8
        .value_kind:     by_value
      - .offset:         8
        .size:           32
        .value_kind:     by_value
      - .address_space:  global
        .offset:         40
        .size:           8
        .value_kind:     global_buffer
      - .offset:         48
        .size:           4
        .value_kind:     hidden_block_count_x
      - .offset:         52
        .size:           4
        .value_kind:     hidden_block_count_y
      - .offset:         56
        .size:           4
        .value_kind:     hidden_block_count_z
      - .offset:         60
        .size:           2
        .value_kind:     hidden_group_size_x
      - .offset:         62
        .size:           2
        .value_kind:     hidden_group_size_y
      - .offset:         64
        .size:           2
        .value_kind:     hidden_group_size_z
      - .offset:         66
        .size:           2
        .value_kind:     hidden_remainder_x
      - .offset:         68
        .size:           2
        .value_kind:     hidden_remainder_y
      - .offset:         70
        .size:           2
        .value_kind:     hidden_remainder_z
      - .offset:         88
        .size:           8
        .value_kind:     hidden_global_offset_x
      - .offset:         96
        .size:           8
        .value_kind:     hidden_global_offset_y
      - .offset:         104
        .size:           8
        .value_kind:     hidden_global_offset_z
      - .offset:         112
        .size:           2
        .value_kind:     hidden_grid_dims
    .group_segment_fixed_size: 0
    .kernarg_segment_align: 8
    .kernarg_segment_size: 304
    .language:       OpenCL C
    .language_version:
      - 2
      - 0
    .max_flat_workgroup_size: 128
    .name:           _ZN12_GLOBAL__N_141elementwise_kernel_with_index_grid_strideIlZZZN2at6native17linspace_cuda_outERKN3c106ScalarES6_lRNS1_6TensorEENKUlvE_clEvENKUlvE_clEvEUllE_EEvT_T0_PN15function_traitsISD_E11result_typeE
    .private_segment_fixed_size: 0
    .sgpr_count:     62
    .sgpr_spill_count: 0
    .symbol:         _ZN12_GLOBAL__N_141elementwise_kernel_with_index_grid_strideIlZZZN2at6native17linspace_cuda_outERKN3c106ScalarES6_lRNS1_6TensorEENKUlvE_clEvENKUlvE_clEvEUllE_EEvT_T0_PN15function_traitsISD_E11result_typeE.kd
    .uniform_work_group_size: 1
    .uses_dynamic_stack: false
    .vgpr_count:     62
    .vgpr_spill_count: 0
    .wavefront_size: 64
  - .agpr_count:     0
    .args:
      - .offset:         0
        .size:           4
        .value_kind:     by_value
      - .offset:         8
        .size:           32
        .value_kind:     by_value
      - .address_space:  global
        .offset:         40
        .size:           8
        .value_kind:     global_buffer
      - .offset:         48
        .size:           4
        .value_kind:     hidden_block_count_x
      - .offset:         52
        .size:           4
        .value_kind:     hidden_block_count_y
      - .offset:         56
        .size:           4
        .value_kind:     hidden_block_count_z
      - .offset:         60
        .size:           2
        .value_kind:     hidden_group_size_x
      - .offset:         62
        .size:           2
        .value_kind:     hidden_group_size_y
      - .offset:         64
        .size:           2
        .value_kind:     hidden_group_size_z
      - .offset:         66
        .size:           2
        .value_kind:     hidden_remainder_x
      - .offset:         68
        .size:           2
        .value_kind:     hidden_remainder_y
      - .offset:         70
        .size:           2
        .value_kind:     hidden_remainder_z
      - .offset:         88
        .size:           8
        .value_kind:     hidden_global_offset_x
      - .offset:         96
        .size:           8
        .value_kind:     hidden_global_offset_y
      - .offset:         104
        .size:           8
        .value_kind:     hidden_global_offset_z
      - .offset:         112
        .size:           2
        .value_kind:     hidden_grid_dims
    .group_segment_fixed_size: 0
    .kernarg_segment_align: 8
    .kernarg_segment_size: 304
    .language:       OpenCL C
    .language_version:
      - 2
      - 0
    .max_flat_workgroup_size: 128
    .name:           _ZN12_GLOBAL__N_141elementwise_kernel_with_index_grid_strideIiZZZN2at6native17linspace_cuda_outERKN3c106ScalarES6_lRNS1_6TensorEENKUlvE_clEvENKUlvE0_clEvEUllE_EEvT_T0_PN15function_traitsISD_E11result_typeE
    .private_segment_fixed_size: 0
    .sgpr_count:     48
    .sgpr_spill_count: 0
    .symbol:         _ZN12_GLOBAL__N_141elementwise_kernel_with_index_grid_strideIiZZZN2at6native17linspace_cuda_outERKN3c106ScalarES6_lRNS1_6TensorEENKUlvE_clEvENKUlvE0_clEvEUllE_EEvT_T0_PN15function_traitsISD_E11result_typeE.kd
    .uniform_work_group_size: 1
    .uses_dynamic_stack: false
    .vgpr_count:     52
    .vgpr_spill_count: 0
    .wavefront_size: 64
  - .agpr_count:     0
    .args:
      - .offset:         0
        .size:           8
        .value_kind:     by_value
      - .offset:         8
        .size:           32
        .value_kind:     by_value
      - .address_space:  global
        .offset:         40
        .size:           8
        .value_kind:     global_buffer
      - .offset:         48
        .size:           4
        .value_kind:     hidden_block_count_x
      - .offset:         52
        .size:           4
        .value_kind:     hidden_block_count_y
      - .offset:         56
        .size:           4
        .value_kind:     hidden_block_count_z
      - .offset:         60
        .size:           2
        .value_kind:     hidden_group_size_x
      - .offset:         62
        .size:           2
        .value_kind:     hidden_group_size_y
      - .offset:         64
        .size:           2
        .value_kind:     hidden_group_size_z
      - .offset:         66
        .size:           2
        .value_kind:     hidden_remainder_x
      - .offset:         68
        .size:           2
        .value_kind:     hidden_remainder_y
      - .offset:         70
        .size:           2
        .value_kind:     hidden_remainder_z
      - .offset:         88
        .size:           8
        .value_kind:     hidden_global_offset_x
      - .offset:         96
        .size:           8
        .value_kind:     hidden_global_offset_y
      - .offset:         104
        .size:           8
        .value_kind:     hidden_global_offset_z
      - .offset:         112
        .size:           2
        .value_kind:     hidden_grid_dims
    .group_segment_fixed_size: 0
    .kernarg_segment_align: 8
    .kernarg_segment_size: 304
    .language:       OpenCL C
    .language_version:
      - 2
      - 0
    .max_flat_workgroup_size: 128
    .name:           _ZN12_GLOBAL__N_141elementwise_kernel_with_index_grid_strideIlZZZN2at6native17linspace_cuda_outERKN3c106ScalarES6_lRNS1_6TensorEENKUlvE_clEvENKUlvE0_clEvEUllE_EEvT_T0_PN15function_traitsISD_E11result_typeE
    .private_segment_fixed_size: 0
    .sgpr_count:     62
    .sgpr_spill_count: 0
    .symbol:         _ZN12_GLOBAL__N_141elementwise_kernel_with_index_grid_strideIlZZZN2at6native17linspace_cuda_outERKN3c106ScalarES6_lRNS1_6TensorEENKUlvE_clEvENKUlvE0_clEvEUllE_EEvT_T0_PN15function_traitsISD_E11result_typeE.kd
    .uniform_work_group_size: 1
    .uses_dynamic_stack: false
    .vgpr_count:     62
    .vgpr_spill_count: 0
    .wavefront_size: 64
  - .agpr_count:     0
    .args:
      - .offset:         0
        .size:           4
        .value_kind:     by_value
      - .offset:         8
        .size:           32
        .value_kind:     by_value
      - .address_space:  global
        .offset:         40
        .size:           8
        .value_kind:     global_buffer
      - .offset:         48
        .size:           4
        .value_kind:     hidden_block_count_x
      - .offset:         52
        .size:           4
        .value_kind:     hidden_block_count_y
      - .offset:         56
        .size:           4
        .value_kind:     hidden_block_count_z
      - .offset:         60
        .size:           2
        .value_kind:     hidden_group_size_x
      - .offset:         62
        .size:           2
        .value_kind:     hidden_group_size_y
      - .offset:         64
        .size:           2
        .value_kind:     hidden_group_size_z
      - .offset:         66
        .size:           2
        .value_kind:     hidden_remainder_x
      - .offset:         68
        .size:           2
        .value_kind:     hidden_remainder_y
      - .offset:         70
        .size:           2
        .value_kind:     hidden_remainder_z
      - .offset:         88
        .size:           8
        .value_kind:     hidden_global_offset_x
      - .offset:         96
        .size:           8
        .value_kind:     hidden_global_offset_y
      - .offset:         104
        .size:           8
        .value_kind:     hidden_global_offset_z
      - .offset:         112
        .size:           2
        .value_kind:     hidden_grid_dims
    .group_segment_fixed_size: 0
    .kernarg_segment_align: 8
    .kernarg_segment_size: 304
    .language:       OpenCL C
    .language_version:
      - 2
      - 0
    .max_flat_workgroup_size: 128
    .name:           _ZN12_GLOBAL__N_141elementwise_kernel_with_index_grid_strideIiZZZN2at6native17linspace_cuda_outERKN3c106ScalarES6_lRNS1_6TensorEENKUlvE_clEvENKUlvE1_clEvEUllE_EEvT_T0_PN15function_traitsISD_E11result_typeE
    .private_segment_fixed_size: 0
    .sgpr_count:     30
    .sgpr_spill_count: 0
    .symbol:         _ZN12_GLOBAL__N_141elementwise_kernel_with_index_grid_strideIiZZZN2at6native17linspace_cuda_outERKN3c106ScalarES6_lRNS1_6TensorEENKUlvE_clEvENKUlvE1_clEvEUllE_EEvT_T0_PN15function_traitsISD_E11result_typeE.kd
    .uniform_work_group_size: 1
    .uses_dynamic_stack: false
    .vgpr_count:     28
    .vgpr_spill_count: 0
    .wavefront_size: 64
  - .agpr_count:     0
    .args:
      - .offset:         0
        .size:           8
        .value_kind:     by_value
      - .offset:         8
        .size:           32
        .value_kind:     by_value
      - .address_space:  global
        .offset:         40
        .size:           8
        .value_kind:     global_buffer
      - .offset:         48
        .size:           4
        .value_kind:     hidden_block_count_x
      - .offset:         52
        .size:           4
        .value_kind:     hidden_block_count_y
      - .offset:         56
        .size:           4
        .value_kind:     hidden_block_count_z
      - .offset:         60
        .size:           2
        .value_kind:     hidden_group_size_x
      - .offset:         62
        .size:           2
        .value_kind:     hidden_group_size_y
      - .offset:         64
        .size:           2
        .value_kind:     hidden_group_size_z
      - .offset:         66
        .size:           2
        .value_kind:     hidden_remainder_x
      - .offset:         68
        .size:           2
        .value_kind:     hidden_remainder_y
      - .offset:         70
        .size:           2
        .value_kind:     hidden_remainder_z
      - .offset:         88
        .size:           8
        .value_kind:     hidden_global_offset_x
      - .offset:         96
        .size:           8
        .value_kind:     hidden_global_offset_y
      - .offset:         104
        .size:           8
        .value_kind:     hidden_global_offset_z
      - .offset:         112
        .size:           2
        .value_kind:     hidden_grid_dims
    .group_segment_fixed_size: 0
    .kernarg_segment_align: 8
    .kernarg_segment_size: 304
    .language:       OpenCL C
    .language_version:
      - 2
      - 0
    .max_flat_workgroup_size: 128
    .name:           _ZN12_GLOBAL__N_141elementwise_kernel_with_index_grid_strideIlZZZN2at6native17linspace_cuda_outERKN3c106ScalarES6_lRNS1_6TensorEENKUlvE_clEvENKUlvE1_clEvEUllE_EEvT_T0_PN15function_traitsISD_E11result_typeE
    .private_segment_fixed_size: 0
    .sgpr_count:     38
    .sgpr_spill_count: 0
    .symbol:         _ZN12_GLOBAL__N_141elementwise_kernel_with_index_grid_strideIlZZZN2at6native17linspace_cuda_outERKN3c106ScalarES6_lRNS1_6TensorEENKUlvE_clEvENKUlvE1_clEvEUllE_EEvT_T0_PN15function_traitsISD_E11result_typeE.kd
    .uniform_work_group_size: 1
    .uses_dynamic_stack: false
    .vgpr_count:     34
    .vgpr_spill_count: 0
    .wavefront_size: 64
  - .agpr_count:     0
    .args:
      - .offset:         0
        .size:           4
        .value_kind:     by_value
      - .offset:         8
        .size:           40
        .value_kind:     by_value
      - .address_space:  global
        .offset:         48
        .size:           8
        .value_kind:     global_buffer
      - .offset:         56
        .size:           4
        .value_kind:     hidden_block_count_x
      - .offset:         60
        .size:           4
        .value_kind:     hidden_block_count_y
      - .offset:         64
        .size:           4
        .value_kind:     hidden_block_count_z
      - .offset:         68
        .size:           2
        .value_kind:     hidden_group_size_x
      - .offset:         70
        .size:           2
        .value_kind:     hidden_group_size_y
      - .offset:         72
        .size:           2
        .value_kind:     hidden_group_size_z
      - .offset:         74
        .size:           2
        .value_kind:     hidden_remainder_x
      - .offset:         76
        .size:           2
        .value_kind:     hidden_remainder_y
      - .offset:         78
        .size:           2
        .value_kind:     hidden_remainder_z
      - .offset:         96
        .size:           8
        .value_kind:     hidden_global_offset_x
      - .offset:         104
        .size:           8
        .value_kind:     hidden_global_offset_y
      - .offset:         112
        .size:           8
        .value_kind:     hidden_global_offset_z
      - .offset:         120
        .size:           2
        .value_kind:     hidden_grid_dims
    .group_segment_fixed_size: 0
    .kernarg_segment_align: 8
    .kernarg_segment_size: 312
    .language:       OpenCL C
    .language_version:
      - 2
      - 0
    .max_flat_workgroup_size: 128
    .name:           _ZN12_GLOBAL__N_141elementwise_kernel_with_index_grid_strideIiZZZN2at6native17linspace_cuda_outERKN3c106ScalarES6_lRNS1_6TensorEENKUlvE_clEvENKUlvE2_clEvEUllE_EEvT_T0_PN15function_traitsISD_E11result_typeE
    .private_segment_fixed_size: 0
    .sgpr_count:     24
    .sgpr_spill_count: 0
    .symbol:         _ZN12_GLOBAL__N_141elementwise_kernel_with_index_grid_strideIiZZZN2at6native17linspace_cuda_outERKN3c106ScalarES6_lRNS1_6TensorEENKUlvE_clEvENKUlvE2_clEvEUllE_EEvT_T0_PN15function_traitsISD_E11result_typeE.kd
    .uniform_work_group_size: 1
    .uses_dynamic_stack: false
    .vgpr_count:     12
    .vgpr_spill_count: 0
    .wavefront_size: 64
  - .agpr_count:     0
    .args:
      - .offset:         0
        .size:           8
        .value_kind:     by_value
      - .offset:         8
        .size:           40
        .value_kind:     by_value
      - .address_space:  global
        .offset:         48
        .size:           8
        .value_kind:     global_buffer
      - .offset:         56
        .size:           4
        .value_kind:     hidden_block_count_x
      - .offset:         60
        .size:           4
        .value_kind:     hidden_block_count_y
      - .offset:         64
        .size:           4
        .value_kind:     hidden_block_count_z
      - .offset:         68
        .size:           2
        .value_kind:     hidden_group_size_x
      - .offset:         70
        .size:           2
        .value_kind:     hidden_group_size_y
      - .offset:         72
        .size:           2
        .value_kind:     hidden_group_size_z
      - .offset:         74
        .size:           2
        .value_kind:     hidden_remainder_x
      - .offset:         76
        .size:           2
        .value_kind:     hidden_remainder_y
      - .offset:         78
        .size:           2
        .value_kind:     hidden_remainder_z
      - .offset:         96
        .size:           8
        .value_kind:     hidden_global_offset_x
      - .offset:         104
        .size:           8
        .value_kind:     hidden_global_offset_y
      - .offset:         112
        .size:           8
        .value_kind:     hidden_global_offset_z
      - .offset:         120
        .size:           2
        .value_kind:     hidden_grid_dims
    .group_segment_fixed_size: 0
    .kernarg_segment_align: 8
    .kernarg_segment_size: 312
    .language:       OpenCL C
    .language_version:
      - 2
      - 0
    .max_flat_workgroup_size: 128
    .name:           _ZN12_GLOBAL__N_141elementwise_kernel_with_index_grid_strideIlZZZN2at6native17linspace_cuda_outERKN3c106ScalarES6_lRNS1_6TensorEENKUlvE_clEvENKUlvE2_clEvEUllE_EEvT_T0_PN15function_traitsISD_E11result_typeE
    .private_segment_fixed_size: 0
    .sgpr_count:     26
    .sgpr_spill_count: 0
    .symbol:         _ZN12_GLOBAL__N_141elementwise_kernel_with_index_grid_strideIlZZZN2at6native17linspace_cuda_outERKN3c106ScalarES6_lRNS1_6TensorEENKUlvE_clEvENKUlvE2_clEvEUllE_EEvT_T0_PN15function_traitsISD_E11result_typeE.kd
    .uniform_work_group_size: 1
    .uses_dynamic_stack: false
    .vgpr_count:     12
    .vgpr_spill_count: 0
    .wavefront_size: 64
  - .agpr_count:     0
    .args:
      - .offset:         0
        .size:           4
        .value_kind:     by_value
      - .offset:         8
        .size:           32
        .value_kind:     by_value
      - .address_space:  global
        .offset:         40
        .size:           8
        .value_kind:     global_buffer
      - .offset:         48
        .size:           4
        .value_kind:     hidden_block_count_x
      - .offset:         52
        .size:           4
        .value_kind:     hidden_block_count_y
      - .offset:         56
        .size:           4
        .value_kind:     hidden_block_count_z
      - .offset:         60
        .size:           2
        .value_kind:     hidden_group_size_x
      - .offset:         62
        .size:           2
        .value_kind:     hidden_group_size_y
      - .offset:         64
        .size:           2
        .value_kind:     hidden_group_size_z
      - .offset:         66
        .size:           2
        .value_kind:     hidden_remainder_x
      - .offset:         68
        .size:           2
        .value_kind:     hidden_remainder_y
      - .offset:         70
        .size:           2
        .value_kind:     hidden_remainder_z
      - .offset:         88
        .size:           8
        .value_kind:     hidden_global_offset_x
      - .offset:         96
        .size:           8
        .value_kind:     hidden_global_offset_y
      - .offset:         104
        .size:           8
        .value_kind:     hidden_global_offset_z
      - .offset:         112
        .size:           2
        .value_kind:     hidden_grid_dims
    .group_segment_fixed_size: 0
    .kernarg_segment_align: 8
    .kernarg_segment_size: 304
    .language:       OpenCL C
    .language_version:
      - 2
      - 0
    .max_flat_workgroup_size: 128
    .name:           _ZN12_GLOBAL__N_141elementwise_kernel_with_index_grid_strideIiZZZN2at6native17linspace_cuda_outERKN3c106ScalarES6_lRNS1_6TensorEENKUlvE_clEvENKUlvE3_clEvEUllE_EEvT_T0_PN15function_traitsISD_E11result_typeE
    .private_segment_fixed_size: 0
    .sgpr_count:     49
    .sgpr_spill_count: 0
    .symbol:         _ZN12_GLOBAL__N_141elementwise_kernel_with_index_grid_strideIiZZZN2at6native17linspace_cuda_outERKN3c106ScalarES6_lRNS1_6TensorEENKUlvE_clEvENKUlvE3_clEvEUllE_EEvT_T0_PN15function_traitsISD_E11result_typeE.kd
    .uniform_work_group_size: 1
    .uses_dynamic_stack: false
    .vgpr_count:     52
    .vgpr_spill_count: 0
    .wavefront_size: 64
  - .agpr_count:     0
    .args:
      - .offset:         0
        .size:           8
        .value_kind:     by_value
      - .offset:         8
        .size:           32
        .value_kind:     by_value
      - .address_space:  global
        .offset:         40
        .size:           8
        .value_kind:     global_buffer
      - .offset:         48
        .size:           4
        .value_kind:     hidden_block_count_x
      - .offset:         52
        .size:           4
        .value_kind:     hidden_block_count_y
      - .offset:         56
        .size:           4
        .value_kind:     hidden_block_count_z
      - .offset:         60
        .size:           2
        .value_kind:     hidden_group_size_x
      - .offset:         62
        .size:           2
        .value_kind:     hidden_group_size_y
      - .offset:         64
        .size:           2
        .value_kind:     hidden_group_size_z
      - .offset:         66
        .size:           2
        .value_kind:     hidden_remainder_x
      - .offset:         68
        .size:           2
        .value_kind:     hidden_remainder_y
      - .offset:         70
        .size:           2
        .value_kind:     hidden_remainder_z
      - .offset:         88
        .size:           8
        .value_kind:     hidden_global_offset_x
      - .offset:         96
        .size:           8
        .value_kind:     hidden_global_offset_y
      - .offset:         104
        .size:           8
        .value_kind:     hidden_global_offset_z
      - .offset:         112
        .size:           2
        .value_kind:     hidden_grid_dims
    .group_segment_fixed_size: 0
    .kernarg_segment_align: 8
    .kernarg_segment_size: 304
    .language:       OpenCL C
    .language_version:
      - 2
      - 0
    .max_flat_workgroup_size: 128
    .name:           _ZN12_GLOBAL__N_141elementwise_kernel_with_index_grid_strideIlZZZN2at6native17linspace_cuda_outERKN3c106ScalarES6_lRNS1_6TensorEENKUlvE_clEvENKUlvE3_clEvEUllE_EEvT_T0_PN15function_traitsISD_E11result_typeE
    .private_segment_fixed_size: 0
    .sgpr_count:     60
    .sgpr_spill_count: 0
    .symbol:         _ZN12_GLOBAL__N_141elementwise_kernel_with_index_grid_strideIlZZZN2at6native17linspace_cuda_outERKN3c106ScalarES6_lRNS1_6TensorEENKUlvE_clEvENKUlvE3_clEvEUllE_EEvT_T0_PN15function_traitsISD_E11result_typeE.kd
    .uniform_work_group_size: 1
    .uses_dynamic_stack: false
    .vgpr_count:     60
    .vgpr_spill_count: 0
    .wavefront_size: 64
  - .agpr_count:     0
    .args:
      - .offset:         0
        .size:           4
        .value_kind:     by_value
      - .offset:         8
        .size:           40
        .value_kind:     by_value
      - .address_space:  global
        .offset:         48
        .size:           8
        .value_kind:     global_buffer
      - .offset:         56
        .size:           4
        .value_kind:     hidden_block_count_x
      - .offset:         60
        .size:           4
        .value_kind:     hidden_block_count_y
      - .offset:         64
        .size:           4
        .value_kind:     hidden_block_count_z
      - .offset:         68
        .size:           2
        .value_kind:     hidden_group_size_x
      - .offset:         70
        .size:           2
        .value_kind:     hidden_group_size_y
      - .offset:         72
        .size:           2
        .value_kind:     hidden_group_size_z
      - .offset:         74
        .size:           2
        .value_kind:     hidden_remainder_x
      - .offset:         76
        .size:           2
        .value_kind:     hidden_remainder_y
      - .offset:         78
        .size:           2
        .value_kind:     hidden_remainder_z
      - .offset:         96
        .size:           8
        .value_kind:     hidden_global_offset_x
      - .offset:         104
        .size:           8
        .value_kind:     hidden_global_offset_y
      - .offset:         112
        .size:           8
        .value_kind:     hidden_global_offset_z
      - .offset:         120
        .size:           2
        .value_kind:     hidden_grid_dims
    .group_segment_fixed_size: 0
    .kernarg_segment_align: 8
    .kernarg_segment_size: 312
    .language:       OpenCL C
    .language_version:
      - 2
      - 0
    .max_flat_workgroup_size: 128
    .name:           _ZN12_GLOBAL__N_141elementwise_kernel_with_index_grid_strideIiZZZN2at6native17linspace_cuda_outERKN3c106ScalarES6_lRNS1_6TensorEENKUlvE0_clEvENKUlvE_clEvEUllE_EEvT_T0_PN15function_traitsISD_E11result_typeE
    .private_segment_fixed_size: 0
    .sgpr_count:     25
    .sgpr_spill_count: 0
    .symbol:         _ZN12_GLOBAL__N_141elementwise_kernel_with_index_grid_strideIiZZZN2at6native17linspace_cuda_outERKN3c106ScalarES6_lRNS1_6TensorEENKUlvE0_clEvENKUlvE_clEvEUllE_EEvT_T0_PN15function_traitsISD_E11result_typeE.kd
    .uniform_work_group_size: 1
    .uses_dynamic_stack: false
    .vgpr_count:     12
    .vgpr_spill_count: 0
    .wavefront_size: 64
  - .agpr_count:     0
    .args:
      - .offset:         0
        .size:           8
        .value_kind:     by_value
      - .offset:         8
        .size:           40
        .value_kind:     by_value
      - .address_space:  global
        .offset:         48
        .size:           8
        .value_kind:     global_buffer
      - .offset:         56
        .size:           4
        .value_kind:     hidden_block_count_x
      - .offset:         60
        .size:           4
        .value_kind:     hidden_block_count_y
      - .offset:         64
        .size:           4
        .value_kind:     hidden_block_count_z
      - .offset:         68
        .size:           2
        .value_kind:     hidden_group_size_x
      - .offset:         70
        .size:           2
        .value_kind:     hidden_group_size_y
      - .offset:         72
        .size:           2
        .value_kind:     hidden_group_size_z
      - .offset:         74
        .size:           2
        .value_kind:     hidden_remainder_x
      - .offset:         76
        .size:           2
        .value_kind:     hidden_remainder_y
      - .offset:         78
        .size:           2
        .value_kind:     hidden_remainder_z
      - .offset:         96
        .size:           8
        .value_kind:     hidden_global_offset_x
      - .offset:         104
        .size:           8
        .value_kind:     hidden_global_offset_y
      - .offset:         112
        .size:           8
        .value_kind:     hidden_global_offset_z
      - .offset:         120
        .size:           2
        .value_kind:     hidden_grid_dims
    .group_segment_fixed_size: 0
    .kernarg_segment_align: 8
    .kernarg_segment_size: 312
    .language:       OpenCL C
    .language_version:
      - 2
      - 0
    .max_flat_workgroup_size: 128
    .name:           _ZN12_GLOBAL__N_141elementwise_kernel_with_index_grid_strideIlZZZN2at6native17linspace_cuda_outERKN3c106ScalarES6_lRNS1_6TensorEENKUlvE0_clEvENKUlvE_clEvEUllE_EEvT_T0_PN15function_traitsISD_E11result_typeE
    .private_segment_fixed_size: 0
    .sgpr_count:     28
    .sgpr_spill_count: 0
    .symbol:         _ZN12_GLOBAL__N_141elementwise_kernel_with_index_grid_strideIlZZZN2at6native17linspace_cuda_outERKN3c106ScalarES6_lRNS1_6TensorEENKUlvE0_clEvENKUlvE_clEvEUllE_EEvT_T0_PN15function_traitsISD_E11result_typeE.kd
    .uniform_work_group_size: 1
    .uses_dynamic_stack: false
    .vgpr_count:     12
    .vgpr_spill_count: 0
    .wavefront_size: 64
  - .agpr_count:     0
    .args:
      - .offset:         0
        .size:           4
        .value_kind:     by_value
      - .offset:         8
        .size:           32
        .value_kind:     by_value
      - .address_space:  global
        .offset:         40
        .size:           8
        .value_kind:     global_buffer
      - .offset:         48
        .size:           4
        .value_kind:     hidden_block_count_x
      - .offset:         52
        .size:           4
        .value_kind:     hidden_block_count_y
      - .offset:         56
        .size:           4
        .value_kind:     hidden_block_count_z
      - .offset:         60
        .size:           2
        .value_kind:     hidden_group_size_x
      - .offset:         62
        .size:           2
        .value_kind:     hidden_group_size_y
      - .offset:         64
        .size:           2
        .value_kind:     hidden_group_size_z
      - .offset:         66
        .size:           2
        .value_kind:     hidden_remainder_x
      - .offset:         68
        .size:           2
        .value_kind:     hidden_remainder_y
      - .offset:         70
        .size:           2
        .value_kind:     hidden_remainder_z
      - .offset:         88
        .size:           8
        .value_kind:     hidden_global_offset_x
      - .offset:         96
        .size:           8
        .value_kind:     hidden_global_offset_y
      - .offset:         104
        .size:           8
        .value_kind:     hidden_global_offset_z
      - .offset:         112
        .size:           2
        .value_kind:     hidden_grid_dims
    .group_segment_fixed_size: 0
    .kernarg_segment_align: 8
    .kernarg_segment_size: 304
    .language:       OpenCL C
    .language_version:
      - 2
      - 0
    .max_flat_workgroup_size: 128
    .name:           _ZN12_GLOBAL__N_141elementwise_kernel_with_index_grid_strideIiZZZN2at6native17linspace_cuda_outERKN3c106ScalarES6_lRNS1_6TensorEENKUlvE0_clEvENKUlvE0_clEvEUllE_EEvT_T0_PN15function_traitsISD_E11result_typeE
    .private_segment_fixed_size: 0
    .sgpr_count:     36
    .sgpr_spill_count: 0
    .symbol:         _ZN12_GLOBAL__N_141elementwise_kernel_with_index_grid_strideIiZZZN2at6native17linspace_cuda_outERKN3c106ScalarES6_lRNS1_6TensorEENKUlvE0_clEvENKUlvE0_clEvEUllE_EEvT_T0_PN15function_traitsISD_E11result_typeE.kd
    .uniform_work_group_size: 1
    .uses_dynamic_stack: false
    .vgpr_count:     28
    .vgpr_spill_count: 0
    .wavefront_size: 64
  - .agpr_count:     0
    .args:
      - .offset:         0
        .size:           8
        .value_kind:     by_value
      - .offset:         8
        .size:           32
        .value_kind:     by_value
      - .address_space:  global
        .offset:         40
        .size:           8
        .value_kind:     global_buffer
      - .offset:         48
        .size:           4
        .value_kind:     hidden_block_count_x
      - .offset:         52
        .size:           4
        .value_kind:     hidden_block_count_y
      - .offset:         56
        .size:           4
        .value_kind:     hidden_block_count_z
      - .offset:         60
        .size:           2
        .value_kind:     hidden_group_size_x
      - .offset:         62
        .size:           2
        .value_kind:     hidden_group_size_y
      - .offset:         64
        .size:           2
        .value_kind:     hidden_group_size_z
      - .offset:         66
        .size:           2
        .value_kind:     hidden_remainder_x
      - .offset:         68
        .size:           2
        .value_kind:     hidden_remainder_y
      - .offset:         70
        .size:           2
        .value_kind:     hidden_remainder_z
      - .offset:         88
        .size:           8
        .value_kind:     hidden_global_offset_x
      - .offset:         96
        .size:           8
        .value_kind:     hidden_global_offset_y
      - .offset:         104
        .size:           8
        .value_kind:     hidden_global_offset_z
      - .offset:         112
        .size:           2
        .value_kind:     hidden_grid_dims
    .group_segment_fixed_size: 0
    .kernarg_segment_align: 8
    .kernarg_segment_size: 304
    .language:       OpenCL C
    .language_version:
      - 2
      - 0
    .max_flat_workgroup_size: 128
    .name:           _ZN12_GLOBAL__N_141elementwise_kernel_with_index_grid_strideIlZZZN2at6native17linspace_cuda_outERKN3c106ScalarES6_lRNS1_6TensorEENKUlvE0_clEvENKUlvE0_clEvEUllE_EEvT_T0_PN15function_traitsISD_E11result_typeE
    .private_segment_fixed_size: 0
    .sgpr_count:     44
    .sgpr_spill_count: 0
    .symbol:         _ZN12_GLOBAL__N_141elementwise_kernel_with_index_grid_strideIlZZZN2at6native17linspace_cuda_outERKN3c106ScalarES6_lRNS1_6TensorEENKUlvE0_clEvENKUlvE0_clEvEUllE_EEvT_T0_PN15function_traitsISD_E11result_typeE.kd
    .uniform_work_group_size: 1
    .uses_dynamic_stack: false
    .vgpr_count:     34
    .vgpr_spill_count: 0
    .wavefront_size: 64
  - .agpr_count:     0
    .args:
      - .offset:         0
        .size:           4
        .value_kind:     by_value
      - .offset:         16
        .size:           80
        .value_kind:     by_value
      - .address_space:  global
        .offset:         96
        .size:           8
        .value_kind:     global_buffer
      - .offset:         104
        .size:           4
        .value_kind:     hidden_block_count_x
      - .offset:         108
        .size:           4
        .value_kind:     hidden_block_count_y
      - .offset:         112
        .size:           4
        .value_kind:     hidden_block_count_z
      - .offset:         116
        .size:           2
        .value_kind:     hidden_group_size_x
      - .offset:         118
        .size:           2
        .value_kind:     hidden_group_size_y
      - .offset:         120
        .size:           2
        .value_kind:     hidden_group_size_z
      - .offset:         122
        .size:           2
        .value_kind:     hidden_remainder_x
      - .offset:         124
        .size:           2
        .value_kind:     hidden_remainder_y
      - .offset:         126
        .size:           2
        .value_kind:     hidden_remainder_z
      - .offset:         144
        .size:           8
        .value_kind:     hidden_global_offset_x
      - .offset:         152
        .size:           8
        .value_kind:     hidden_global_offset_y
      - .offset:         160
        .size:           8
        .value_kind:     hidden_global_offset_z
      - .offset:         168
        .size:           2
        .value_kind:     hidden_grid_dims
    .group_segment_fixed_size: 0
    .kernarg_segment_align: 16
    .kernarg_segment_size: 360
    .language:       OpenCL C
    .language_version:
      - 2
      - 0
    .max_flat_workgroup_size: 128
    .name:           _ZN12_GLOBAL__N_141elementwise_kernel_with_index_grid_strideIiZZZN2at6native17linspace_cuda_outERKN3c106ScalarES6_lRNS1_6TensorEENKUlvE0_clEvENKUlvE1_clEvEUllE_EEvT_T0_PN15function_traitsISD_E11result_typeE
    .private_segment_fixed_size: 0
    .sgpr_count:     32
    .sgpr_spill_count: 0
    .symbol:         _ZN12_GLOBAL__N_141elementwise_kernel_with_index_grid_strideIiZZZN2at6native17linspace_cuda_outERKN3c106ScalarES6_lRNS1_6TensorEENKUlvE0_clEvENKUlvE1_clEvEUllE_EEvT_T0_PN15function_traitsISD_E11result_typeE.kd
    .uniform_work_group_size: 1
    .uses_dynamic_stack: false
    .vgpr_count:     14
    .vgpr_spill_count: 0
    .wavefront_size: 64
  - .agpr_count:     0
    .args:
      - .offset:         0
        .size:           8
        .value_kind:     by_value
      - .offset:         16
        .size:           80
        .value_kind:     by_value
      - .address_space:  global
        .offset:         96
        .size:           8
        .value_kind:     global_buffer
      - .offset:         104
        .size:           4
        .value_kind:     hidden_block_count_x
      - .offset:         108
        .size:           4
        .value_kind:     hidden_block_count_y
      - .offset:         112
        .size:           4
        .value_kind:     hidden_block_count_z
      - .offset:         116
        .size:           2
        .value_kind:     hidden_group_size_x
      - .offset:         118
        .size:           2
        .value_kind:     hidden_group_size_y
      - .offset:         120
        .size:           2
        .value_kind:     hidden_group_size_z
      - .offset:         122
        .size:           2
        .value_kind:     hidden_remainder_x
      - .offset:         124
        .size:           2
        .value_kind:     hidden_remainder_y
      - .offset:         126
        .size:           2
        .value_kind:     hidden_remainder_z
      - .offset:         144
        .size:           8
        .value_kind:     hidden_global_offset_x
      - .offset:         152
        .size:           8
        .value_kind:     hidden_global_offset_y
      - .offset:         160
        .size:           8
        .value_kind:     hidden_global_offset_z
      - .offset:         168
        .size:           2
        .value_kind:     hidden_grid_dims
    .group_segment_fixed_size: 0
    .kernarg_segment_align: 16
    .kernarg_segment_size: 360
    .language:       OpenCL C
    .language_version:
      - 2
      - 0
    .max_flat_workgroup_size: 128
    .name:           _ZN12_GLOBAL__N_141elementwise_kernel_with_index_grid_strideIlZZZN2at6native17linspace_cuda_outERKN3c106ScalarES6_lRNS1_6TensorEENKUlvE0_clEvENKUlvE1_clEvEUllE_EEvT_T0_PN15function_traitsISD_E11result_typeE
    .private_segment_fixed_size: 0
    .sgpr_count:     32
    .sgpr_spill_count: 0
    .symbol:         _ZN12_GLOBAL__N_141elementwise_kernel_with_index_grid_strideIlZZZN2at6native17linspace_cuda_outERKN3c106ScalarES6_lRNS1_6TensorEENKUlvE0_clEvENKUlvE1_clEvEUllE_EEvT_T0_PN15function_traitsISD_E11result_typeE.kd
    .uniform_work_group_size: 1
    .uses_dynamic_stack: false
    .vgpr_count:     14
    .vgpr_spill_count: 0
    .wavefront_size: 64
  - .agpr_count:     0
    .args:
      - .offset:         0
        .size:           4
        .value_kind:     by_value
      - .offset:         8
        .size:           40
        .value_kind:     by_value
      - .address_space:  global
        .offset:         48
        .size:           8
        .value_kind:     global_buffer
      - .offset:         56
        .size:           4
        .value_kind:     hidden_block_count_x
      - .offset:         60
        .size:           4
        .value_kind:     hidden_block_count_y
      - .offset:         64
        .size:           4
        .value_kind:     hidden_block_count_z
      - .offset:         68
        .size:           2
        .value_kind:     hidden_group_size_x
      - .offset:         70
        .size:           2
        .value_kind:     hidden_group_size_y
      - .offset:         72
        .size:           2
        .value_kind:     hidden_group_size_z
      - .offset:         74
        .size:           2
        .value_kind:     hidden_remainder_x
      - .offset:         76
        .size:           2
        .value_kind:     hidden_remainder_y
      - .offset:         78
        .size:           2
        .value_kind:     hidden_remainder_z
      - .offset:         96
        .size:           8
        .value_kind:     hidden_global_offset_x
      - .offset:         104
        .size:           8
        .value_kind:     hidden_global_offset_y
      - .offset:         112
        .size:           8
        .value_kind:     hidden_global_offset_z
      - .offset:         120
        .size:           2
        .value_kind:     hidden_grid_dims
    .group_segment_fixed_size: 0
    .kernarg_segment_align: 8
    .kernarg_segment_size: 312
    .language:       OpenCL C
    .language_version:
      - 2
      - 0
    .max_flat_workgroup_size: 128
    .name:           _ZN12_GLOBAL__N_141elementwise_kernel_with_index_grid_strideIiZZZN2at6native17linspace_cuda_outERKN3c106ScalarES6_lRNS1_6TensorEENKUlvE0_clEvENKUlvE2_clEvEUllE_EEvT_T0_PN15function_traitsISD_E11result_typeE
    .private_segment_fixed_size: 0
    .sgpr_count:     25
    .sgpr_spill_count: 0
    .symbol:         _ZN12_GLOBAL__N_141elementwise_kernel_with_index_grid_strideIiZZZN2at6native17linspace_cuda_outERKN3c106ScalarES6_lRNS1_6TensorEENKUlvE0_clEvENKUlvE2_clEvEUllE_EEvT_T0_PN15function_traitsISD_E11result_typeE.kd
    .uniform_work_group_size: 1
    .uses_dynamic_stack: false
    .vgpr_count:     12
    .vgpr_spill_count: 0
    .wavefront_size: 64
  - .agpr_count:     0
    .args:
      - .offset:         0
        .size:           8
        .value_kind:     by_value
      - .offset:         8
        .size:           40
        .value_kind:     by_value
      - .address_space:  global
        .offset:         48
        .size:           8
        .value_kind:     global_buffer
      - .offset:         56
        .size:           4
        .value_kind:     hidden_block_count_x
      - .offset:         60
        .size:           4
        .value_kind:     hidden_block_count_y
      - .offset:         64
        .size:           4
        .value_kind:     hidden_block_count_z
      - .offset:         68
        .size:           2
        .value_kind:     hidden_group_size_x
      - .offset:         70
        .size:           2
        .value_kind:     hidden_group_size_y
      - .offset:         72
        .size:           2
        .value_kind:     hidden_group_size_z
      - .offset:         74
        .size:           2
        .value_kind:     hidden_remainder_x
      - .offset:         76
        .size:           2
        .value_kind:     hidden_remainder_y
      - .offset:         78
        .size:           2
        .value_kind:     hidden_remainder_z
      - .offset:         96
        .size:           8
        .value_kind:     hidden_global_offset_x
      - .offset:         104
        .size:           8
        .value_kind:     hidden_global_offset_y
      - .offset:         112
        .size:           8
        .value_kind:     hidden_global_offset_z
      - .offset:         120
        .size:           2
        .value_kind:     hidden_grid_dims
    .group_segment_fixed_size: 0
    .kernarg_segment_align: 8
    .kernarg_segment_size: 312
    .language:       OpenCL C
    .language_version:
      - 2
      - 0
    .max_flat_workgroup_size: 128
    .name:           _ZN12_GLOBAL__N_141elementwise_kernel_with_index_grid_strideIlZZZN2at6native17linspace_cuda_outERKN3c106ScalarES6_lRNS1_6TensorEENKUlvE0_clEvENKUlvE2_clEvEUllE_EEvT_T0_PN15function_traitsISD_E11result_typeE
    .private_segment_fixed_size: 0
    .sgpr_count:     26
    .sgpr_spill_count: 0
    .symbol:         _ZN12_GLOBAL__N_141elementwise_kernel_with_index_grid_strideIlZZZN2at6native17linspace_cuda_outERKN3c106ScalarES6_lRNS1_6TensorEENKUlvE0_clEvENKUlvE2_clEvEUllE_EEvT_T0_PN15function_traitsISD_E11result_typeE.kd
    .uniform_work_group_size: 1
    .uses_dynamic_stack: false
    .vgpr_count:     12
    .vgpr_spill_count: 0
    .wavefront_size: 64
  - .agpr_count:     0
    .args:
      - .offset:         0
        .size:           4
        .value_kind:     by_value
      - .offset:         8
        .size:           32
        .value_kind:     by_value
      - .address_space:  global
        .offset:         40
        .size:           8
        .value_kind:     global_buffer
      - .offset:         48
        .size:           4
        .value_kind:     hidden_block_count_x
      - .offset:         52
        .size:           4
        .value_kind:     hidden_block_count_y
      - .offset:         56
        .size:           4
        .value_kind:     hidden_block_count_z
      - .offset:         60
        .size:           2
        .value_kind:     hidden_group_size_x
      - .offset:         62
        .size:           2
        .value_kind:     hidden_group_size_y
      - .offset:         64
        .size:           2
        .value_kind:     hidden_group_size_z
      - .offset:         66
        .size:           2
        .value_kind:     hidden_remainder_x
      - .offset:         68
        .size:           2
        .value_kind:     hidden_remainder_y
      - .offset:         70
        .size:           2
        .value_kind:     hidden_remainder_z
      - .offset:         88
        .size:           8
        .value_kind:     hidden_global_offset_x
      - .offset:         96
        .size:           8
        .value_kind:     hidden_global_offset_y
      - .offset:         104
        .size:           8
        .value_kind:     hidden_global_offset_z
      - .offset:         112
        .size:           2
        .value_kind:     hidden_grid_dims
    .group_segment_fixed_size: 0
    .kernarg_segment_align: 8
    .kernarg_segment_size: 304
    .language:       OpenCL C
    .language_version:
      - 2
      - 0
    .max_flat_workgroup_size: 128
    .name:           _ZN12_GLOBAL__N_141elementwise_kernel_with_index_grid_strideIiZZZN2at6native17linspace_cuda_outERKN3c106ScalarES6_lRNS1_6TensorEENKUlvE0_clEvENKUlvE3_clEvEUllE_EEvT_T0_PN15function_traitsISD_E11result_typeE
    .private_segment_fixed_size: 0
    .sgpr_count:     47
    .sgpr_spill_count: 0
    .symbol:         _ZN12_GLOBAL__N_141elementwise_kernel_with_index_grid_strideIiZZZN2at6native17linspace_cuda_outERKN3c106ScalarES6_lRNS1_6TensorEENKUlvE0_clEvENKUlvE3_clEvEUllE_EEvT_T0_PN15function_traitsISD_E11result_typeE.kd
    .uniform_work_group_size: 1
    .uses_dynamic_stack: false
    .vgpr_count:     48
    .vgpr_spill_count: 0
    .wavefront_size: 64
  - .agpr_count:     0
    .args:
      - .offset:         0
        .size:           8
        .value_kind:     by_value
      - .offset:         8
        .size:           32
        .value_kind:     by_value
      - .address_space:  global
        .offset:         40
        .size:           8
        .value_kind:     global_buffer
      - .offset:         48
        .size:           4
        .value_kind:     hidden_block_count_x
      - .offset:         52
        .size:           4
        .value_kind:     hidden_block_count_y
      - .offset:         56
        .size:           4
        .value_kind:     hidden_block_count_z
      - .offset:         60
        .size:           2
        .value_kind:     hidden_group_size_x
      - .offset:         62
        .size:           2
        .value_kind:     hidden_group_size_y
      - .offset:         64
        .size:           2
        .value_kind:     hidden_group_size_z
      - .offset:         66
        .size:           2
        .value_kind:     hidden_remainder_x
      - .offset:         68
        .size:           2
        .value_kind:     hidden_remainder_y
      - .offset:         70
        .size:           2
        .value_kind:     hidden_remainder_z
      - .offset:         88
        .size:           8
        .value_kind:     hidden_global_offset_x
      - .offset:         96
        .size:           8
        .value_kind:     hidden_global_offset_y
      - .offset:         104
        .size:           8
        .value_kind:     hidden_global_offset_z
      - .offset:         112
        .size:           2
        .value_kind:     hidden_grid_dims
    .group_segment_fixed_size: 0
    .kernarg_segment_align: 8
    .kernarg_segment_size: 304
    .language:       OpenCL C
    .language_version:
      - 2
      - 0
    .max_flat_workgroup_size: 128
    .name:           _ZN12_GLOBAL__N_141elementwise_kernel_with_index_grid_strideIlZZZN2at6native17linspace_cuda_outERKN3c106ScalarES6_lRNS1_6TensorEENKUlvE0_clEvENKUlvE3_clEvEUllE_EEvT_T0_PN15function_traitsISD_E11result_typeE
    .private_segment_fixed_size: 0
    .sgpr_count:     60
    .sgpr_spill_count: 0
    .symbol:         _ZN12_GLOBAL__N_141elementwise_kernel_with_index_grid_strideIlZZZN2at6native17linspace_cuda_outERKN3c106ScalarES6_lRNS1_6TensorEENKUlvE0_clEvENKUlvE3_clEvEUllE_EEvT_T0_PN15function_traitsISD_E11result_typeE.kd
    .uniform_work_group_size: 1
    .uses_dynamic_stack: false
    .vgpr_count:     56
    .vgpr_spill_count: 0
    .wavefront_size: 64
  - .agpr_count:     0
    .args:
      - .offset:         0
        .size:           4
        .value_kind:     by_value
      - .offset:         8
        .size:           32
        .value_kind:     by_value
      - .address_space:  global
        .offset:         40
        .size:           8
        .value_kind:     global_buffer
      - .offset:         48
        .size:           4
        .value_kind:     hidden_block_count_x
      - .offset:         52
        .size:           4
        .value_kind:     hidden_block_count_y
      - .offset:         56
        .size:           4
        .value_kind:     hidden_block_count_z
      - .offset:         60
        .size:           2
        .value_kind:     hidden_group_size_x
      - .offset:         62
        .size:           2
        .value_kind:     hidden_group_size_y
      - .offset:         64
        .size:           2
        .value_kind:     hidden_group_size_z
      - .offset:         66
        .size:           2
        .value_kind:     hidden_remainder_x
      - .offset:         68
        .size:           2
        .value_kind:     hidden_remainder_y
      - .offset:         70
        .size:           2
        .value_kind:     hidden_remainder_z
      - .offset:         88
        .size:           8
        .value_kind:     hidden_global_offset_x
      - .offset:         96
        .size:           8
        .value_kind:     hidden_global_offset_y
      - .offset:         104
        .size:           8
        .value_kind:     hidden_global_offset_z
      - .offset:         112
        .size:           2
        .value_kind:     hidden_grid_dims
    .group_segment_fixed_size: 0
    .kernarg_segment_align: 8
    .kernarg_segment_size: 304
    .language:       OpenCL C
    .language_version:
      - 2
      - 0
    .max_flat_workgroup_size: 128
    .name:           _ZN12_GLOBAL__N_141elementwise_kernel_with_index_grid_strideIiZZZN2at6native17linspace_cuda_outERKN3c106ScalarES6_lRNS1_6TensorEENKUlvE0_clEvENKUlvE4_clEvEUllE_EEvT_T0_PN15function_traitsISD_E11result_typeE
    .private_segment_fixed_size: 0
    .sgpr_count:     54
    .sgpr_spill_count: 0
    .symbol:         _ZN12_GLOBAL__N_141elementwise_kernel_with_index_grid_strideIiZZZN2at6native17linspace_cuda_outERKN3c106ScalarES6_lRNS1_6TensorEENKUlvE0_clEvENKUlvE4_clEvEUllE_EEvT_T0_PN15function_traitsISD_E11result_typeE.kd
    .uniform_work_group_size: 1
    .uses_dynamic_stack: false
    .vgpr_count:     50
    .vgpr_spill_count: 0
    .wavefront_size: 64
  - .agpr_count:     0
    .args:
      - .offset:         0
        .size:           8
        .value_kind:     by_value
      - .offset:         8
        .size:           32
        .value_kind:     by_value
      - .address_space:  global
        .offset:         40
        .size:           8
        .value_kind:     global_buffer
      - .offset:         48
        .size:           4
        .value_kind:     hidden_block_count_x
      - .offset:         52
        .size:           4
        .value_kind:     hidden_block_count_y
      - .offset:         56
        .size:           4
        .value_kind:     hidden_block_count_z
      - .offset:         60
        .size:           2
        .value_kind:     hidden_group_size_x
      - .offset:         62
        .size:           2
        .value_kind:     hidden_group_size_y
      - .offset:         64
        .size:           2
        .value_kind:     hidden_group_size_z
      - .offset:         66
        .size:           2
        .value_kind:     hidden_remainder_x
      - .offset:         68
        .size:           2
        .value_kind:     hidden_remainder_y
      - .offset:         70
        .size:           2
        .value_kind:     hidden_remainder_z
      - .offset:         88
        .size:           8
        .value_kind:     hidden_global_offset_x
      - .offset:         96
        .size:           8
        .value_kind:     hidden_global_offset_y
      - .offset:         104
        .size:           8
        .value_kind:     hidden_global_offset_z
      - .offset:         112
        .size:           2
        .value_kind:     hidden_grid_dims
    .group_segment_fixed_size: 0
    .kernarg_segment_align: 8
    .kernarg_segment_size: 304
    .language:       OpenCL C
    .language_version:
      - 2
      - 0
    .max_flat_workgroup_size: 128
    .name:           _ZN12_GLOBAL__N_141elementwise_kernel_with_index_grid_strideIlZZZN2at6native17linspace_cuda_outERKN3c106ScalarES6_lRNS1_6TensorEENKUlvE0_clEvENKUlvE4_clEvEUllE_EEvT_T0_PN15function_traitsISD_E11result_typeE
    .private_segment_fixed_size: 0
    .sgpr_count:     68
    .sgpr_spill_count: 0
    .symbol:         _ZN12_GLOBAL__N_141elementwise_kernel_with_index_grid_strideIlZZZN2at6native17linspace_cuda_outERKN3c106ScalarES6_lRNS1_6TensorEENKUlvE0_clEvENKUlvE4_clEvEUllE_EEvT_T0_PN15function_traitsISD_E11result_typeE.kd
    .uniform_work_group_size: 1
    .uses_dynamic_stack: false
    .vgpr_count:     54
    .vgpr_spill_count: 0
    .wavefront_size: 64
  - .agpr_count:     0
    .args:
      - .offset:         0
        .size:           4
        .value_kind:     by_value
      - .offset:         8
        .size:           32
        .value_kind:     by_value
      - .address_space:  global
        .offset:         40
        .size:           8
        .value_kind:     global_buffer
      - .offset:         48
        .size:           4
        .value_kind:     hidden_block_count_x
      - .offset:         52
        .size:           4
        .value_kind:     hidden_block_count_y
      - .offset:         56
        .size:           4
        .value_kind:     hidden_block_count_z
      - .offset:         60
        .size:           2
        .value_kind:     hidden_group_size_x
      - .offset:         62
        .size:           2
        .value_kind:     hidden_group_size_y
      - .offset:         64
        .size:           2
        .value_kind:     hidden_group_size_z
      - .offset:         66
        .size:           2
        .value_kind:     hidden_remainder_x
      - .offset:         68
        .size:           2
        .value_kind:     hidden_remainder_y
      - .offset:         70
        .size:           2
        .value_kind:     hidden_remainder_z
      - .offset:         88
        .size:           8
        .value_kind:     hidden_global_offset_x
      - .offset:         96
        .size:           8
        .value_kind:     hidden_global_offset_y
      - .offset:         104
        .size:           8
        .value_kind:     hidden_global_offset_z
      - .offset:         112
        .size:           2
        .value_kind:     hidden_grid_dims
    .group_segment_fixed_size: 0
    .kernarg_segment_align: 8
    .kernarg_segment_size: 304
    .language:       OpenCL C
    .language_version:
      - 2
      - 0
    .max_flat_workgroup_size: 128
    .name:           _ZN12_GLOBAL__N_141elementwise_kernel_with_index_grid_strideIiZZZN2at6native17logspace_cuda_outERKN3c106ScalarES6_ldRNS1_6TensorEENKUlvE_clEvENKUlvE_clEvEUllE_EEvT_T0_PN15function_traitsISD_E11result_typeE
    .private_segment_fixed_size: 0
    .sgpr_count:     32
    .sgpr_spill_count: 0
    .symbol:         _ZN12_GLOBAL__N_141elementwise_kernel_with_index_grid_strideIiZZZN2at6native17logspace_cuda_outERKN3c106ScalarES6_ldRNS1_6TensorEENKUlvE_clEvENKUlvE_clEvEUllE_EEvT_T0_PN15function_traitsISD_E11result_typeE.kd
    .uniform_work_group_size: 1
    .uses_dynamic_stack: false
    .vgpr_count:     28
    .vgpr_spill_count: 0
    .wavefront_size: 64
  - .agpr_count:     0
    .args:
      - .offset:         0
        .size:           8
        .value_kind:     by_value
      - .offset:         8
        .size:           32
        .value_kind:     by_value
      - .address_space:  global
        .offset:         40
        .size:           8
        .value_kind:     global_buffer
      - .offset:         48
        .size:           4
        .value_kind:     hidden_block_count_x
      - .offset:         52
        .size:           4
        .value_kind:     hidden_block_count_y
      - .offset:         56
        .size:           4
        .value_kind:     hidden_block_count_z
      - .offset:         60
        .size:           2
        .value_kind:     hidden_group_size_x
      - .offset:         62
        .size:           2
        .value_kind:     hidden_group_size_y
      - .offset:         64
        .size:           2
        .value_kind:     hidden_group_size_z
      - .offset:         66
        .size:           2
        .value_kind:     hidden_remainder_x
      - .offset:         68
        .size:           2
        .value_kind:     hidden_remainder_y
      - .offset:         70
        .size:           2
        .value_kind:     hidden_remainder_z
      - .offset:         88
        .size:           8
        .value_kind:     hidden_global_offset_x
      - .offset:         96
        .size:           8
        .value_kind:     hidden_global_offset_y
      - .offset:         104
        .size:           8
        .value_kind:     hidden_global_offset_z
      - .offset:         112
        .size:           2
        .value_kind:     hidden_grid_dims
    .group_segment_fixed_size: 0
    .kernarg_segment_align: 8
    .kernarg_segment_size: 304
    .language:       OpenCL C
    .language_version:
      - 2
      - 0
    .max_flat_workgroup_size: 128
    .name:           _ZN12_GLOBAL__N_141elementwise_kernel_with_index_grid_strideIlZZZN2at6native17logspace_cuda_outERKN3c106ScalarES6_ldRNS1_6TensorEENKUlvE_clEvENKUlvE_clEvEUllE_EEvT_T0_PN15function_traitsISD_E11result_typeE
    .private_segment_fixed_size: 0
    .sgpr_count:     34
    .sgpr_spill_count: 0
    .symbol:         _ZN12_GLOBAL__N_141elementwise_kernel_with_index_grid_strideIlZZZN2at6native17logspace_cuda_outERKN3c106ScalarES6_ldRNS1_6TensorEENKUlvE_clEvENKUlvE_clEvEUllE_EEvT_T0_PN15function_traitsISD_E11result_typeE.kd
    .uniform_work_group_size: 1
    .uses_dynamic_stack: false
    .vgpr_count:     28
    .vgpr_spill_count: 0
    .wavefront_size: 64
  - .agpr_count:     0
    .args:
      - .offset:         0
        .size:           4
        .value_kind:     by_value
      - .offset:         8
        .size:           32
        .value_kind:     by_value
      - .address_space:  global
        .offset:         40
        .size:           8
        .value_kind:     global_buffer
      - .offset:         48
        .size:           4
        .value_kind:     hidden_block_count_x
      - .offset:         52
        .size:           4
        .value_kind:     hidden_block_count_y
      - .offset:         56
        .size:           4
        .value_kind:     hidden_block_count_z
      - .offset:         60
        .size:           2
        .value_kind:     hidden_group_size_x
      - .offset:         62
        .size:           2
        .value_kind:     hidden_group_size_y
      - .offset:         64
        .size:           2
        .value_kind:     hidden_group_size_z
      - .offset:         66
        .size:           2
        .value_kind:     hidden_remainder_x
      - .offset:         68
        .size:           2
        .value_kind:     hidden_remainder_y
      - .offset:         70
        .size:           2
        .value_kind:     hidden_remainder_z
      - .offset:         88
        .size:           8
        .value_kind:     hidden_global_offset_x
      - .offset:         96
        .size:           8
        .value_kind:     hidden_global_offset_y
      - .offset:         104
        .size:           8
        .value_kind:     hidden_global_offset_z
      - .offset:         112
        .size:           2
        .value_kind:     hidden_grid_dims
    .group_segment_fixed_size: 0
    .kernarg_segment_align: 8
    .kernarg_segment_size: 304
    .language:       OpenCL C
    .language_version:
      - 2
      - 0
    .max_flat_workgroup_size: 128
    .name:           _ZN12_GLOBAL__N_141elementwise_kernel_with_index_grid_strideIiZZZN2at6native17logspace_cuda_outERKN3c106ScalarES6_ldRNS1_6TensorEENKUlvE_clEvENKUlvE0_clEvEUllE_EEvT_T0_PN15function_traitsISD_E11result_typeE
    .private_segment_fixed_size: 0
    .sgpr_count:     32
    .sgpr_spill_count: 0
    .symbol:         _ZN12_GLOBAL__N_141elementwise_kernel_with_index_grid_strideIiZZZN2at6native17logspace_cuda_outERKN3c106ScalarES6_ldRNS1_6TensorEENKUlvE_clEvENKUlvE0_clEvEUllE_EEvT_T0_PN15function_traitsISD_E11result_typeE.kd
    .uniform_work_group_size: 1
    .uses_dynamic_stack: false
    .vgpr_count:     28
    .vgpr_spill_count: 0
    .wavefront_size: 64
  - .agpr_count:     0
    .args:
      - .offset:         0
        .size:           8
        .value_kind:     by_value
      - .offset:         8
        .size:           32
        .value_kind:     by_value
      - .address_space:  global
        .offset:         40
        .size:           8
        .value_kind:     global_buffer
      - .offset:         48
        .size:           4
        .value_kind:     hidden_block_count_x
      - .offset:         52
        .size:           4
        .value_kind:     hidden_block_count_y
      - .offset:         56
        .size:           4
        .value_kind:     hidden_block_count_z
      - .offset:         60
        .size:           2
        .value_kind:     hidden_group_size_x
      - .offset:         62
        .size:           2
        .value_kind:     hidden_group_size_y
      - .offset:         64
        .size:           2
        .value_kind:     hidden_group_size_z
      - .offset:         66
        .size:           2
        .value_kind:     hidden_remainder_x
      - .offset:         68
        .size:           2
        .value_kind:     hidden_remainder_y
      - .offset:         70
        .size:           2
        .value_kind:     hidden_remainder_z
      - .offset:         88
        .size:           8
        .value_kind:     hidden_global_offset_x
      - .offset:         96
        .size:           8
        .value_kind:     hidden_global_offset_y
      - .offset:         104
        .size:           8
        .value_kind:     hidden_global_offset_z
      - .offset:         112
        .size:           2
        .value_kind:     hidden_grid_dims
    .group_segment_fixed_size: 0
    .kernarg_segment_align: 8
    .kernarg_segment_size: 304
    .language:       OpenCL C
    .language_version:
      - 2
      - 0
    .max_flat_workgroup_size: 128
    .name:           _ZN12_GLOBAL__N_141elementwise_kernel_with_index_grid_strideIlZZZN2at6native17logspace_cuda_outERKN3c106ScalarES6_ldRNS1_6TensorEENKUlvE_clEvENKUlvE0_clEvEUllE_EEvT_T0_PN15function_traitsISD_E11result_typeE
    .private_segment_fixed_size: 0
    .sgpr_count:     34
    .sgpr_spill_count: 0
    .symbol:         _ZN12_GLOBAL__N_141elementwise_kernel_with_index_grid_strideIlZZZN2at6native17logspace_cuda_outERKN3c106ScalarES6_ldRNS1_6TensorEENKUlvE_clEvENKUlvE0_clEvEUllE_EEvT_T0_PN15function_traitsISD_E11result_typeE.kd
    .uniform_work_group_size: 1
    .uses_dynamic_stack: false
    .vgpr_count:     28
    .vgpr_spill_count: 0
    .wavefront_size: 64
  - .agpr_count:     0
    .args:
      - .offset:         0
        .size:           4
        .value_kind:     by_value
      - .offset:         8
        .size:           40
        .value_kind:     by_value
      - .address_space:  global
        .offset:         48
        .size:           8
        .value_kind:     global_buffer
      - .offset:         56
        .size:           4
        .value_kind:     hidden_block_count_x
      - .offset:         60
        .size:           4
        .value_kind:     hidden_block_count_y
      - .offset:         64
        .size:           4
        .value_kind:     hidden_block_count_z
      - .offset:         68
        .size:           2
        .value_kind:     hidden_group_size_x
      - .offset:         70
        .size:           2
        .value_kind:     hidden_group_size_y
      - .offset:         72
        .size:           2
        .value_kind:     hidden_group_size_z
      - .offset:         74
        .size:           2
        .value_kind:     hidden_remainder_x
      - .offset:         76
        .size:           2
        .value_kind:     hidden_remainder_y
      - .offset:         78
        .size:           2
        .value_kind:     hidden_remainder_z
      - .offset:         96
        .size:           8
        .value_kind:     hidden_global_offset_x
      - .offset:         104
        .size:           8
        .value_kind:     hidden_global_offset_y
      - .offset:         112
        .size:           8
        .value_kind:     hidden_global_offset_z
      - .offset:         120
        .size:           2
        .value_kind:     hidden_grid_dims
    .group_segment_fixed_size: 0
    .kernarg_segment_align: 8
    .kernarg_segment_size: 312
    .language:       OpenCL C
    .language_version:
      - 2
      - 0
    .max_flat_workgroup_size: 128
    .name:           _ZN12_GLOBAL__N_141elementwise_kernel_with_index_grid_strideIiZZZN2at6native17logspace_cuda_outERKN3c106ScalarES6_ldRNS1_6TensorEENKUlvE_clEvENKUlvE1_clEvEUllE_EEvT_T0_PN15function_traitsISD_E11result_typeE
    .private_segment_fixed_size: 0
    .sgpr_count:     32
    .sgpr_spill_count: 0
    .symbol:         _ZN12_GLOBAL__N_141elementwise_kernel_with_index_grid_strideIiZZZN2at6native17logspace_cuda_outERKN3c106ScalarES6_ldRNS1_6TensorEENKUlvE_clEvENKUlvE1_clEvEUllE_EEvT_T0_PN15function_traitsISD_E11result_typeE.kd
    .uniform_work_group_size: 1
    .uses_dynamic_stack: false
    .vgpr_count:     30
    .vgpr_spill_count: 0
    .wavefront_size: 64
  - .agpr_count:     0
    .args:
      - .offset:         0
        .size:           8
        .value_kind:     by_value
      - .offset:         8
        .size:           40
        .value_kind:     by_value
      - .address_space:  global
        .offset:         48
        .size:           8
        .value_kind:     global_buffer
      - .offset:         56
        .size:           4
        .value_kind:     hidden_block_count_x
      - .offset:         60
        .size:           4
        .value_kind:     hidden_block_count_y
      - .offset:         64
        .size:           4
        .value_kind:     hidden_block_count_z
      - .offset:         68
        .size:           2
        .value_kind:     hidden_group_size_x
      - .offset:         70
        .size:           2
        .value_kind:     hidden_group_size_y
      - .offset:         72
        .size:           2
        .value_kind:     hidden_group_size_z
      - .offset:         74
        .size:           2
        .value_kind:     hidden_remainder_x
      - .offset:         76
        .size:           2
        .value_kind:     hidden_remainder_y
      - .offset:         78
        .size:           2
        .value_kind:     hidden_remainder_z
      - .offset:         96
        .size:           8
        .value_kind:     hidden_global_offset_x
      - .offset:         104
        .size:           8
        .value_kind:     hidden_global_offset_y
      - .offset:         112
        .size:           8
        .value_kind:     hidden_global_offset_z
      - .offset:         120
        .size:           2
        .value_kind:     hidden_grid_dims
    .group_segment_fixed_size: 0
    .kernarg_segment_align: 8
    .kernarg_segment_size: 312
    .language:       OpenCL C
    .language_version:
      - 2
      - 0
    .max_flat_workgroup_size: 128
    .name:           _ZN12_GLOBAL__N_141elementwise_kernel_with_index_grid_strideIlZZZN2at6native17logspace_cuda_outERKN3c106ScalarES6_ldRNS1_6TensorEENKUlvE_clEvENKUlvE1_clEvEUllE_EEvT_T0_PN15function_traitsISD_E11result_typeE
    .private_segment_fixed_size: 0
    .sgpr_count:     34
    .sgpr_spill_count: 0
    .symbol:         _ZN12_GLOBAL__N_141elementwise_kernel_with_index_grid_strideIlZZZN2at6native17logspace_cuda_outERKN3c106ScalarES6_ldRNS1_6TensorEENKUlvE_clEvENKUlvE1_clEvEUllE_EEvT_T0_PN15function_traitsISD_E11result_typeE.kd
    .uniform_work_group_size: 1
    .uses_dynamic_stack: false
    .vgpr_count:     30
    .vgpr_spill_count: 0
    .wavefront_size: 64
  - .agpr_count:     0
    .args:
      - .offset:         0
        .size:           4
        .value_kind:     by_value
      - .offset:         8
        .size:           48
        .value_kind:     by_value
      - .address_space:  global
        .offset:         56
        .size:           8
        .value_kind:     global_buffer
      - .offset:         64
        .size:           4
        .value_kind:     hidden_block_count_x
      - .offset:         68
        .size:           4
        .value_kind:     hidden_block_count_y
      - .offset:         72
        .size:           4
        .value_kind:     hidden_block_count_z
      - .offset:         76
        .size:           2
        .value_kind:     hidden_group_size_x
      - .offset:         78
        .size:           2
        .value_kind:     hidden_group_size_y
      - .offset:         80
        .size:           2
        .value_kind:     hidden_group_size_z
      - .offset:         82
        .size:           2
        .value_kind:     hidden_remainder_x
      - .offset:         84
        .size:           2
        .value_kind:     hidden_remainder_y
      - .offset:         86
        .size:           2
        .value_kind:     hidden_remainder_z
      - .offset:         104
        .size:           8
        .value_kind:     hidden_global_offset_x
      - .offset:         112
        .size:           8
        .value_kind:     hidden_global_offset_y
      - .offset:         120
        .size:           8
        .value_kind:     hidden_global_offset_z
      - .offset:         128
        .size:           2
        .value_kind:     hidden_grid_dims
    .group_segment_fixed_size: 0
    .kernarg_segment_align: 8
    .kernarg_segment_size: 320
    .language:       OpenCL C
    .language_version:
      - 2
      - 0
    .max_flat_workgroup_size: 128
    .name:           _ZN12_GLOBAL__N_141elementwise_kernel_with_index_grid_strideIiZZZN2at6native17logspace_cuda_outERKN3c106ScalarES6_ldRNS1_6TensorEENKUlvE_clEvENKUlvE2_clEvEUllE_EEvT_T0_PN15function_traitsISD_E11result_typeE
    .private_segment_fixed_size: 0
    .sgpr_count:     34
    .sgpr_spill_count: 0
    .symbol:         _ZN12_GLOBAL__N_141elementwise_kernel_with_index_grid_strideIiZZZN2at6native17logspace_cuda_outERKN3c106ScalarES6_ldRNS1_6TensorEENKUlvE_clEvENKUlvE2_clEvEUllE_EEvT_T0_PN15function_traitsISD_E11result_typeE.kd
    .uniform_work_group_size: 1
    .uses_dynamic_stack: false
    .vgpr_count:     30
    .vgpr_spill_count: 0
    .wavefront_size: 64
  - .agpr_count:     0
    .args:
      - .offset:         0
        .size:           8
        .value_kind:     by_value
      - .offset:         8
        .size:           48
        .value_kind:     by_value
      - .address_space:  global
        .offset:         56
        .size:           8
        .value_kind:     global_buffer
      - .offset:         64
        .size:           4
        .value_kind:     hidden_block_count_x
      - .offset:         68
        .size:           4
        .value_kind:     hidden_block_count_y
      - .offset:         72
        .size:           4
        .value_kind:     hidden_block_count_z
      - .offset:         76
        .size:           2
        .value_kind:     hidden_group_size_x
      - .offset:         78
        .size:           2
        .value_kind:     hidden_group_size_y
      - .offset:         80
        .size:           2
        .value_kind:     hidden_group_size_z
      - .offset:         82
        .size:           2
        .value_kind:     hidden_remainder_x
      - .offset:         84
        .size:           2
        .value_kind:     hidden_remainder_y
      - .offset:         86
        .size:           2
        .value_kind:     hidden_remainder_z
      - .offset:         104
        .size:           8
        .value_kind:     hidden_global_offset_x
      - .offset:         112
        .size:           8
        .value_kind:     hidden_global_offset_y
      - .offset:         120
        .size:           8
        .value_kind:     hidden_global_offset_z
      - .offset:         128
        .size:           2
        .value_kind:     hidden_grid_dims
    .group_segment_fixed_size: 0
    .kernarg_segment_align: 8
    .kernarg_segment_size: 320
    .language:       OpenCL C
    .language_version:
      - 2
      - 0
    .max_flat_workgroup_size: 128
    .name:           _ZN12_GLOBAL__N_141elementwise_kernel_with_index_grid_strideIlZZZN2at6native17logspace_cuda_outERKN3c106ScalarES6_ldRNS1_6TensorEENKUlvE_clEvENKUlvE2_clEvEUllE_EEvT_T0_PN15function_traitsISD_E11result_typeE
    .private_segment_fixed_size: 0
    .sgpr_count:     36
    .sgpr_spill_count: 0
    .symbol:         _ZN12_GLOBAL__N_141elementwise_kernel_with_index_grid_strideIlZZZN2at6native17logspace_cuda_outERKN3c106ScalarES6_ldRNS1_6TensorEENKUlvE_clEvENKUlvE2_clEvEUllE_EEvT_T0_PN15function_traitsISD_E11result_typeE.kd
    .uniform_work_group_size: 1
    .uses_dynamic_stack: false
    .vgpr_count:     30
    .vgpr_spill_count: 0
    .wavefront_size: 64
  - .agpr_count:     0
    .args:
      - .offset:         0
        .size:           4
        .value_kind:     by_value
      - .offset:         8
        .size:           32
        .value_kind:     by_value
      - .address_space:  global
        .offset:         40
        .size:           8
        .value_kind:     global_buffer
      - .offset:         48
        .size:           4
        .value_kind:     hidden_block_count_x
      - .offset:         52
        .size:           4
        .value_kind:     hidden_block_count_y
      - .offset:         56
        .size:           4
        .value_kind:     hidden_block_count_z
      - .offset:         60
        .size:           2
        .value_kind:     hidden_group_size_x
      - .offset:         62
        .size:           2
        .value_kind:     hidden_group_size_y
      - .offset:         64
        .size:           2
        .value_kind:     hidden_group_size_z
      - .offset:         66
        .size:           2
        .value_kind:     hidden_remainder_x
      - .offset:         68
        .size:           2
        .value_kind:     hidden_remainder_y
      - .offset:         70
        .size:           2
        .value_kind:     hidden_remainder_z
      - .offset:         88
        .size:           8
        .value_kind:     hidden_global_offset_x
      - .offset:         96
        .size:           8
        .value_kind:     hidden_global_offset_y
      - .offset:         104
        .size:           8
        .value_kind:     hidden_global_offset_z
      - .offset:         112
        .size:           2
        .value_kind:     hidden_grid_dims
    .group_segment_fixed_size: 0
    .kernarg_segment_align: 8
    .kernarg_segment_size: 304
    .language:       OpenCL C
    .language_version:
      - 2
      - 0
    .max_flat_workgroup_size: 128
    .name:           _ZN12_GLOBAL__N_141elementwise_kernel_with_index_grid_strideIiZZZN2at6native17logspace_cuda_outERKN3c106ScalarES6_ldRNS1_6TensorEENKUlvE_clEvENKUlvE3_clEvEUllE_EEvT_T0_PN15function_traitsISD_E11result_typeE
    .private_segment_fixed_size: 0
    .sgpr_count:     32
    .sgpr_spill_count: 0
    .symbol:         _ZN12_GLOBAL__N_141elementwise_kernel_with_index_grid_strideIiZZZN2at6native17logspace_cuda_outERKN3c106ScalarES6_ldRNS1_6TensorEENKUlvE_clEvENKUlvE3_clEvEUllE_EEvT_T0_PN15function_traitsISD_E11result_typeE.kd
    .uniform_work_group_size: 1
    .uses_dynamic_stack: false
    .vgpr_count:     30
    .vgpr_spill_count: 0
    .wavefront_size: 64
  - .agpr_count:     0
    .args:
      - .offset:         0
        .size:           8
        .value_kind:     by_value
      - .offset:         8
        .size:           32
        .value_kind:     by_value
      - .address_space:  global
        .offset:         40
        .size:           8
        .value_kind:     global_buffer
      - .offset:         48
        .size:           4
        .value_kind:     hidden_block_count_x
      - .offset:         52
        .size:           4
        .value_kind:     hidden_block_count_y
      - .offset:         56
        .size:           4
        .value_kind:     hidden_block_count_z
      - .offset:         60
        .size:           2
        .value_kind:     hidden_group_size_x
      - .offset:         62
        .size:           2
        .value_kind:     hidden_group_size_y
      - .offset:         64
        .size:           2
        .value_kind:     hidden_group_size_z
      - .offset:         66
        .size:           2
        .value_kind:     hidden_remainder_x
      - .offset:         68
        .size:           2
        .value_kind:     hidden_remainder_y
      - .offset:         70
        .size:           2
        .value_kind:     hidden_remainder_z
      - .offset:         88
        .size:           8
        .value_kind:     hidden_global_offset_x
      - .offset:         96
        .size:           8
        .value_kind:     hidden_global_offset_y
      - .offset:         104
        .size:           8
        .value_kind:     hidden_global_offset_z
      - .offset:         112
        .size:           2
        .value_kind:     hidden_grid_dims
    .group_segment_fixed_size: 0
    .kernarg_segment_align: 8
    .kernarg_segment_size: 304
    .language:       OpenCL C
    .language_version:
      - 2
      - 0
    .max_flat_workgroup_size: 128
    .name:           _ZN12_GLOBAL__N_141elementwise_kernel_with_index_grid_strideIlZZZN2at6native17logspace_cuda_outERKN3c106ScalarES6_ldRNS1_6TensorEENKUlvE_clEvENKUlvE3_clEvEUllE_EEvT_T0_PN15function_traitsISD_E11result_typeE
    .private_segment_fixed_size: 0
    .sgpr_count:     34
    .sgpr_spill_count: 0
    .symbol:         _ZN12_GLOBAL__N_141elementwise_kernel_with_index_grid_strideIlZZZN2at6native17logspace_cuda_outERKN3c106ScalarES6_ldRNS1_6TensorEENKUlvE_clEvENKUlvE3_clEvEUllE_EEvT_T0_PN15function_traitsISD_E11result_typeE.kd
    .uniform_work_group_size: 1
    .uses_dynamic_stack: false
    .vgpr_count:     30
    .vgpr_spill_count: 0
    .wavefront_size: 64
  - .agpr_count:     0
    .args:
      - .offset:         0
        .size:           4
        .value_kind:     by_value
      - .offset:         8
        .size:           48
        .value_kind:     by_value
      - .address_space:  global
        .offset:         56
        .size:           8
        .value_kind:     global_buffer
      - .offset:         64
        .size:           4
        .value_kind:     hidden_block_count_x
      - .offset:         68
        .size:           4
        .value_kind:     hidden_block_count_y
      - .offset:         72
        .size:           4
        .value_kind:     hidden_block_count_z
      - .offset:         76
        .size:           2
        .value_kind:     hidden_group_size_x
      - .offset:         78
        .size:           2
        .value_kind:     hidden_group_size_y
      - .offset:         80
        .size:           2
        .value_kind:     hidden_group_size_z
      - .offset:         82
        .size:           2
        .value_kind:     hidden_remainder_x
      - .offset:         84
        .size:           2
        .value_kind:     hidden_remainder_y
      - .offset:         86
        .size:           2
        .value_kind:     hidden_remainder_z
      - .offset:         104
        .size:           8
        .value_kind:     hidden_global_offset_x
      - .offset:         112
        .size:           8
        .value_kind:     hidden_global_offset_y
      - .offset:         120
        .size:           8
        .value_kind:     hidden_global_offset_z
      - .offset:         128
        .size:           2
        .value_kind:     hidden_grid_dims
    .group_segment_fixed_size: 0
    .kernarg_segment_align: 8
    .kernarg_segment_size: 320
    .language:       OpenCL C
    .language_version:
      - 2
      - 0
    .max_flat_workgroup_size: 128
    .name:           _ZN12_GLOBAL__N_141elementwise_kernel_with_index_grid_strideIiZZZN2at6native17logspace_cuda_outERKN3c106ScalarES6_ldRNS1_6TensorEENKUlvE0_clEvENKUlvE_clEvEUllE_EEvT_T0_PN15function_traitsISD_E11result_typeE
    .private_segment_fixed_size: 0
    .sgpr_count:     60
    .sgpr_spill_count: 0
    .symbol:         _ZN12_GLOBAL__N_141elementwise_kernel_with_index_grid_strideIiZZZN2at6native17logspace_cuda_outERKN3c106ScalarES6_ldRNS1_6TensorEENKUlvE0_clEvENKUlvE_clEvEUllE_EEvT_T0_PN15function_traitsISD_E11result_typeE.kd
    .uniform_work_group_size: 1
    .uses_dynamic_stack: false
    .vgpr_count:     68
    .vgpr_spill_count: 0
    .wavefront_size: 64
  - .agpr_count:     0
    .args:
      - .offset:         0
        .size:           8
        .value_kind:     by_value
      - .offset:         8
        .size:           48
        .value_kind:     by_value
      - .address_space:  global
        .offset:         56
        .size:           8
        .value_kind:     global_buffer
      - .offset:         64
        .size:           4
        .value_kind:     hidden_block_count_x
      - .offset:         68
        .size:           4
        .value_kind:     hidden_block_count_y
      - .offset:         72
        .size:           4
        .value_kind:     hidden_block_count_z
      - .offset:         76
        .size:           2
        .value_kind:     hidden_group_size_x
      - .offset:         78
        .size:           2
        .value_kind:     hidden_group_size_y
      - .offset:         80
        .size:           2
        .value_kind:     hidden_group_size_z
      - .offset:         82
        .size:           2
        .value_kind:     hidden_remainder_x
      - .offset:         84
        .size:           2
        .value_kind:     hidden_remainder_y
      - .offset:         86
        .size:           2
        .value_kind:     hidden_remainder_z
      - .offset:         104
        .size:           8
        .value_kind:     hidden_global_offset_x
      - .offset:         112
        .size:           8
        .value_kind:     hidden_global_offset_y
      - .offset:         120
        .size:           8
        .value_kind:     hidden_global_offset_z
      - .offset:         128
        .size:           2
        .value_kind:     hidden_grid_dims
    .group_segment_fixed_size: 0
    .kernarg_segment_align: 8
    .kernarg_segment_size: 320
    .language:       OpenCL C
    .language_version:
      - 2
      - 0
    .max_flat_workgroup_size: 128
    .name:           _ZN12_GLOBAL__N_141elementwise_kernel_with_index_grid_strideIlZZZN2at6native17logspace_cuda_outERKN3c106ScalarES6_ldRNS1_6TensorEENKUlvE0_clEvENKUlvE_clEvEUllE_EEvT_T0_PN15function_traitsISD_E11result_typeE
    .private_segment_fixed_size: 0
    .sgpr_count:     62
    .sgpr_spill_count: 0
    .symbol:         _ZN12_GLOBAL__N_141elementwise_kernel_with_index_grid_strideIlZZZN2at6native17logspace_cuda_outERKN3c106ScalarES6_ldRNS1_6TensorEENKUlvE0_clEvENKUlvE_clEvEUllE_EEvT_T0_PN15function_traitsISD_E11result_typeE.kd
    .uniform_work_group_size: 1
    .uses_dynamic_stack: false
    .vgpr_count:     68
    .vgpr_spill_count: 0
    .wavefront_size: 64
  - .agpr_count:     0
    .args:
      - .offset:         0
        .size:           4
        .value_kind:     by_value
      - .offset:         8
        .size:           40
        .value_kind:     by_value
      - .address_space:  global
        .offset:         48
        .size:           8
        .value_kind:     global_buffer
      - .offset:         56
        .size:           4
        .value_kind:     hidden_block_count_x
      - .offset:         60
        .size:           4
        .value_kind:     hidden_block_count_y
      - .offset:         64
        .size:           4
        .value_kind:     hidden_block_count_z
      - .offset:         68
        .size:           2
        .value_kind:     hidden_group_size_x
      - .offset:         70
        .size:           2
        .value_kind:     hidden_group_size_y
      - .offset:         72
        .size:           2
        .value_kind:     hidden_group_size_z
      - .offset:         74
        .size:           2
        .value_kind:     hidden_remainder_x
      - .offset:         76
        .size:           2
        .value_kind:     hidden_remainder_y
      - .offset:         78
        .size:           2
        .value_kind:     hidden_remainder_z
      - .offset:         96
        .size:           8
        .value_kind:     hidden_global_offset_x
      - .offset:         104
        .size:           8
        .value_kind:     hidden_global_offset_y
      - .offset:         112
        .size:           8
        .value_kind:     hidden_global_offset_z
      - .offset:         120
        .size:           2
        .value_kind:     hidden_grid_dims
    .group_segment_fixed_size: 0
    .kernarg_segment_align: 8
    .kernarg_segment_size: 312
    .language:       OpenCL C
    .language_version:
      - 2
      - 0
    .max_flat_workgroup_size: 128
    .name:           _ZN12_GLOBAL__N_141elementwise_kernel_with_index_grid_strideIiZZZN2at6native17logspace_cuda_outERKN3c106ScalarES6_ldRNS1_6TensorEENKUlvE0_clEvENKUlvE0_clEvEUllE_EEvT_T0_PN15function_traitsISD_E11result_typeE
    .private_segment_fixed_size: 0
    .sgpr_count:     34
    .sgpr_spill_count: 0
    .symbol:         _ZN12_GLOBAL__N_141elementwise_kernel_with_index_grid_strideIiZZZN2at6native17logspace_cuda_outERKN3c106ScalarES6_ldRNS1_6TensorEENKUlvE0_clEvENKUlvE0_clEvEUllE_EEvT_T0_PN15function_traitsISD_E11result_typeE.kd
    .uniform_work_group_size: 1
    .uses_dynamic_stack: false
    .vgpr_count:     28
    .vgpr_spill_count: 0
    .wavefront_size: 64
  - .agpr_count:     0
    .args:
      - .offset:         0
        .size:           8
        .value_kind:     by_value
      - .offset:         8
        .size:           40
        .value_kind:     by_value
      - .address_space:  global
        .offset:         48
        .size:           8
        .value_kind:     global_buffer
      - .offset:         56
        .size:           4
        .value_kind:     hidden_block_count_x
      - .offset:         60
        .size:           4
        .value_kind:     hidden_block_count_y
      - .offset:         64
        .size:           4
        .value_kind:     hidden_block_count_z
      - .offset:         68
        .size:           2
        .value_kind:     hidden_group_size_x
      - .offset:         70
        .size:           2
        .value_kind:     hidden_group_size_y
      - .offset:         72
        .size:           2
        .value_kind:     hidden_group_size_z
      - .offset:         74
        .size:           2
        .value_kind:     hidden_remainder_x
      - .offset:         76
        .size:           2
        .value_kind:     hidden_remainder_y
      - .offset:         78
        .size:           2
        .value_kind:     hidden_remainder_z
      - .offset:         96
        .size:           8
        .value_kind:     hidden_global_offset_x
      - .offset:         104
        .size:           8
        .value_kind:     hidden_global_offset_y
      - .offset:         112
        .size:           8
        .value_kind:     hidden_global_offset_z
      - .offset:         120
        .size:           2
        .value_kind:     hidden_grid_dims
    .group_segment_fixed_size: 0
    .kernarg_segment_align: 8
    .kernarg_segment_size: 312
    .language:       OpenCL C
    .language_version:
      - 2
      - 0
    .max_flat_workgroup_size: 128
    .name:           _ZN12_GLOBAL__N_141elementwise_kernel_with_index_grid_strideIlZZZN2at6native17logspace_cuda_outERKN3c106ScalarES6_ldRNS1_6TensorEENKUlvE0_clEvENKUlvE0_clEvEUllE_EEvT_T0_PN15function_traitsISD_E11result_typeE
    .private_segment_fixed_size: 0
    .sgpr_count:     36
    .sgpr_spill_count: 0
    .symbol:         _ZN12_GLOBAL__N_141elementwise_kernel_with_index_grid_strideIlZZZN2at6native17logspace_cuda_outERKN3c106ScalarES6_ldRNS1_6TensorEENKUlvE0_clEvENKUlvE0_clEvEUllE_EEvT_T0_PN15function_traitsISD_E11result_typeE.kd
    .uniform_work_group_size: 1
    .uses_dynamic_stack: false
    .vgpr_count:     28
    .vgpr_spill_count: 0
    .wavefront_size: 64
  - .agpr_count:     0
    .args:
      - .offset:         0
        .size:           4
        .value_kind:     by_value
      - .offset:         16
        .size:           96
        .value_kind:     by_value
      - .address_space:  global
        .offset:         112
        .size:           8
        .value_kind:     global_buffer
      - .offset:         120
        .size:           4
        .value_kind:     hidden_block_count_x
      - .offset:         124
        .size:           4
        .value_kind:     hidden_block_count_y
      - .offset:         128
        .size:           4
        .value_kind:     hidden_block_count_z
      - .offset:         132
        .size:           2
        .value_kind:     hidden_group_size_x
      - .offset:         134
        .size:           2
        .value_kind:     hidden_group_size_y
      - .offset:         136
        .size:           2
        .value_kind:     hidden_group_size_z
      - .offset:         138
        .size:           2
        .value_kind:     hidden_remainder_x
      - .offset:         140
        .size:           2
        .value_kind:     hidden_remainder_y
      - .offset:         142
        .size:           2
        .value_kind:     hidden_remainder_z
      - .offset:         160
        .size:           8
        .value_kind:     hidden_global_offset_x
      - .offset:         168
        .size:           8
        .value_kind:     hidden_global_offset_y
      - .offset:         176
        .size:           8
        .value_kind:     hidden_global_offset_z
      - .offset:         184
        .size:           2
        .value_kind:     hidden_grid_dims
    .group_segment_fixed_size: 0
    .kernarg_segment_align: 16
    .kernarg_segment_size: 376
    .language:       OpenCL C
    .language_version:
      - 2
      - 0
    .max_flat_workgroup_size: 128
    .name:           _ZN12_GLOBAL__N_141elementwise_kernel_with_index_grid_strideIiZZZN2at6native17logspace_cuda_outERKN3c106ScalarES6_ldRNS1_6TensorEENKUlvE0_clEvENKUlvE1_clEvEUllE_EEvT_T0_PN15function_traitsISD_E11result_typeE
    .private_segment_fixed_size: 0
    .sgpr_count:     70
    .sgpr_spill_count: 0
    .symbol:         _ZN12_GLOBAL__N_141elementwise_kernel_with_index_grid_strideIiZZZN2at6native17logspace_cuda_outERKN3c106ScalarES6_ldRNS1_6TensorEENKUlvE0_clEvENKUlvE1_clEvEUllE_EEvT_T0_PN15function_traitsISD_E11result_typeE.kd
    .uniform_work_group_size: 1
    .uses_dynamic_stack: false
    .vgpr_count:     43
    .vgpr_spill_count: 0
    .wavefront_size: 64
  - .agpr_count:     0
    .args:
      - .offset:         0
        .size:           8
        .value_kind:     by_value
      - .offset:         16
        .size:           96
        .value_kind:     by_value
      - .address_space:  global
        .offset:         112
        .size:           8
        .value_kind:     global_buffer
      - .offset:         120
        .size:           4
        .value_kind:     hidden_block_count_x
      - .offset:         124
        .size:           4
        .value_kind:     hidden_block_count_y
      - .offset:         128
        .size:           4
        .value_kind:     hidden_block_count_z
      - .offset:         132
        .size:           2
        .value_kind:     hidden_group_size_x
      - .offset:         134
        .size:           2
        .value_kind:     hidden_group_size_y
      - .offset:         136
        .size:           2
        .value_kind:     hidden_group_size_z
      - .offset:         138
        .size:           2
        .value_kind:     hidden_remainder_x
      - .offset:         140
        .size:           2
        .value_kind:     hidden_remainder_y
      - .offset:         142
        .size:           2
        .value_kind:     hidden_remainder_z
      - .offset:         160
        .size:           8
        .value_kind:     hidden_global_offset_x
      - .offset:         168
        .size:           8
        .value_kind:     hidden_global_offset_y
      - .offset:         176
        .size:           8
        .value_kind:     hidden_global_offset_z
      - .offset:         184
        .size:           2
        .value_kind:     hidden_grid_dims
    .group_segment_fixed_size: 0
    .kernarg_segment_align: 16
    .kernarg_segment_size: 376
    .language:       OpenCL C
    .language_version:
      - 2
      - 0
    .max_flat_workgroup_size: 128
    .name:           _ZN12_GLOBAL__N_141elementwise_kernel_with_index_grid_strideIlZZZN2at6native17logspace_cuda_outERKN3c106ScalarES6_ldRNS1_6TensorEENKUlvE0_clEvENKUlvE1_clEvEUllE_EEvT_T0_PN15function_traitsISD_E11result_typeE
    .private_segment_fixed_size: 0
    .sgpr_count:     72
    .sgpr_spill_count: 0
    .symbol:         _ZN12_GLOBAL__N_141elementwise_kernel_with_index_grid_strideIlZZZN2at6native17logspace_cuda_outERKN3c106ScalarES6_ldRNS1_6TensorEENKUlvE0_clEvENKUlvE1_clEvEUllE_EEvT_T0_PN15function_traitsISD_E11result_typeE.kd
    .uniform_work_group_size: 1
    .uses_dynamic_stack: false
    .vgpr_count:     43
    .vgpr_spill_count: 0
    .wavefront_size: 64
  - .agpr_count:     0
    .args:
      - .offset:         0
        .size:           4
        .value_kind:     by_value
      - .offset:         8
        .size:           48
        .value_kind:     by_value
      - .address_space:  global
        .offset:         56
        .size:           8
        .value_kind:     global_buffer
      - .offset:         64
        .size:           4
        .value_kind:     hidden_block_count_x
      - .offset:         68
        .size:           4
        .value_kind:     hidden_block_count_y
      - .offset:         72
        .size:           4
        .value_kind:     hidden_block_count_z
      - .offset:         76
        .size:           2
        .value_kind:     hidden_group_size_x
      - .offset:         78
        .size:           2
        .value_kind:     hidden_group_size_y
      - .offset:         80
        .size:           2
        .value_kind:     hidden_group_size_z
      - .offset:         82
        .size:           2
        .value_kind:     hidden_remainder_x
      - .offset:         84
        .size:           2
        .value_kind:     hidden_remainder_y
      - .offset:         86
        .size:           2
        .value_kind:     hidden_remainder_z
      - .offset:         104
        .size:           8
        .value_kind:     hidden_global_offset_x
      - .offset:         112
        .size:           8
        .value_kind:     hidden_global_offset_y
      - .offset:         120
        .size:           8
        .value_kind:     hidden_global_offset_z
      - .offset:         128
        .size:           2
        .value_kind:     hidden_grid_dims
    .group_segment_fixed_size: 0
    .kernarg_segment_align: 8
    .kernarg_segment_size: 320
    .language:       OpenCL C
    .language_version:
      - 2
      - 0
    .max_flat_workgroup_size: 128
    .name:           _ZN12_GLOBAL__N_141elementwise_kernel_with_index_grid_strideIiZZZN2at6native17logspace_cuda_outERKN3c106ScalarES6_ldRNS1_6TensorEENKUlvE0_clEvENKUlvE2_clEvEUllE_EEvT_T0_PN15function_traitsISD_E11result_typeE
    .private_segment_fixed_size: 0
    .sgpr_count:     50
    .sgpr_spill_count: 0
    .symbol:         _ZN12_GLOBAL__N_141elementwise_kernel_with_index_grid_strideIiZZZN2at6native17logspace_cuda_outERKN3c106ScalarES6_ldRNS1_6TensorEENKUlvE0_clEvENKUlvE2_clEvEUllE_EEvT_T0_PN15function_traitsISD_E11result_typeE.kd
    .uniform_work_group_size: 1
    .uses_dynamic_stack: false
    .vgpr_count:     28
    .vgpr_spill_count: 0
    .wavefront_size: 64
  - .agpr_count:     0
    .args:
      - .offset:         0
        .size:           8
        .value_kind:     by_value
      - .offset:         8
        .size:           48
        .value_kind:     by_value
      - .address_space:  global
        .offset:         56
        .size:           8
        .value_kind:     global_buffer
      - .offset:         64
        .size:           4
        .value_kind:     hidden_block_count_x
      - .offset:         68
        .size:           4
        .value_kind:     hidden_block_count_y
      - .offset:         72
        .size:           4
        .value_kind:     hidden_block_count_z
      - .offset:         76
        .size:           2
        .value_kind:     hidden_group_size_x
      - .offset:         78
        .size:           2
        .value_kind:     hidden_group_size_y
      - .offset:         80
        .size:           2
        .value_kind:     hidden_group_size_z
      - .offset:         82
        .size:           2
        .value_kind:     hidden_remainder_x
      - .offset:         84
        .size:           2
        .value_kind:     hidden_remainder_y
      - .offset:         86
        .size:           2
        .value_kind:     hidden_remainder_z
      - .offset:         104
        .size:           8
        .value_kind:     hidden_global_offset_x
      - .offset:         112
        .size:           8
        .value_kind:     hidden_global_offset_y
      - .offset:         120
        .size:           8
        .value_kind:     hidden_global_offset_z
      - .offset:         128
        .size:           2
        .value_kind:     hidden_grid_dims
    .group_segment_fixed_size: 0
    .kernarg_segment_align: 8
    .kernarg_segment_size: 320
    .language:       OpenCL C
    .language_version:
      - 2
      - 0
    .max_flat_workgroup_size: 128
    .name:           _ZN12_GLOBAL__N_141elementwise_kernel_with_index_grid_strideIlZZZN2at6native17logspace_cuda_outERKN3c106ScalarES6_ldRNS1_6TensorEENKUlvE0_clEvENKUlvE2_clEvEUllE_EEvT_T0_PN15function_traitsISD_E11result_typeE
    .private_segment_fixed_size: 0
    .sgpr_count:     52
    .sgpr_spill_count: 0
    .symbol:         _ZN12_GLOBAL__N_141elementwise_kernel_with_index_grid_strideIlZZZN2at6native17logspace_cuda_outERKN3c106ScalarES6_ldRNS1_6TensorEENKUlvE0_clEvENKUlvE2_clEvEUllE_EEvT_T0_PN15function_traitsISD_E11result_typeE.kd
    .uniform_work_group_size: 1
    .uses_dynamic_stack: false
    .vgpr_count:     28
    .vgpr_spill_count: 0
    .wavefront_size: 64
  - .agpr_count:     0
    .args:
      - .offset:         0
        .size:           4
        .value_kind:     by_value
      - .offset:         8
        .size:           32
        .value_kind:     by_value
      - .address_space:  global
        .offset:         40
        .size:           8
        .value_kind:     global_buffer
      - .offset:         48
        .size:           4
        .value_kind:     hidden_block_count_x
      - .offset:         52
        .size:           4
        .value_kind:     hidden_block_count_y
      - .offset:         56
        .size:           4
        .value_kind:     hidden_block_count_z
      - .offset:         60
        .size:           2
        .value_kind:     hidden_group_size_x
      - .offset:         62
        .size:           2
        .value_kind:     hidden_group_size_y
      - .offset:         64
        .size:           2
        .value_kind:     hidden_group_size_z
      - .offset:         66
        .size:           2
        .value_kind:     hidden_remainder_x
      - .offset:         68
        .size:           2
        .value_kind:     hidden_remainder_y
      - .offset:         70
        .size:           2
        .value_kind:     hidden_remainder_z
      - .offset:         88
        .size:           8
        .value_kind:     hidden_global_offset_x
      - .offset:         96
        .size:           8
        .value_kind:     hidden_global_offset_y
      - .offset:         104
        .size:           8
        .value_kind:     hidden_global_offset_z
      - .offset:         112
        .size:           2
        .value_kind:     hidden_grid_dims
    .group_segment_fixed_size: 0
    .kernarg_segment_align: 8
    .kernarg_segment_size: 304
    .language:       OpenCL C
    .language_version:
      - 2
      - 0
    .max_flat_workgroup_size: 128
    .name:           _ZN12_GLOBAL__N_141elementwise_kernel_with_index_grid_strideIiZZZN2at6native17logspace_cuda_outERKN3c106ScalarES6_ldRNS1_6TensorEENKUlvE0_clEvENKUlvE3_clEvEUllE_EEvT_T0_PN15function_traitsISD_E11result_typeE
    .private_segment_fixed_size: 0
    .sgpr_count:     34
    .sgpr_spill_count: 0
    .symbol:         _ZN12_GLOBAL__N_141elementwise_kernel_with_index_grid_strideIiZZZN2at6native17logspace_cuda_outERKN3c106ScalarES6_ldRNS1_6TensorEENKUlvE0_clEvENKUlvE3_clEvEUllE_EEvT_T0_PN15function_traitsISD_E11result_typeE.kd
    .uniform_work_group_size: 1
    .uses_dynamic_stack: false
    .vgpr_count:     28
    .vgpr_spill_count: 0
    .wavefront_size: 64
  - .agpr_count:     0
    .args:
      - .offset:         0
        .size:           8
        .value_kind:     by_value
      - .offset:         8
        .size:           32
        .value_kind:     by_value
      - .address_space:  global
        .offset:         40
        .size:           8
        .value_kind:     global_buffer
      - .offset:         48
        .size:           4
        .value_kind:     hidden_block_count_x
      - .offset:         52
        .size:           4
        .value_kind:     hidden_block_count_y
      - .offset:         56
        .size:           4
        .value_kind:     hidden_block_count_z
      - .offset:         60
        .size:           2
        .value_kind:     hidden_group_size_x
      - .offset:         62
        .size:           2
        .value_kind:     hidden_group_size_y
      - .offset:         64
        .size:           2
        .value_kind:     hidden_group_size_z
      - .offset:         66
        .size:           2
        .value_kind:     hidden_remainder_x
      - .offset:         68
        .size:           2
        .value_kind:     hidden_remainder_y
      - .offset:         70
        .size:           2
        .value_kind:     hidden_remainder_z
      - .offset:         88
        .size:           8
        .value_kind:     hidden_global_offset_x
      - .offset:         96
        .size:           8
        .value_kind:     hidden_global_offset_y
      - .offset:         104
        .size:           8
        .value_kind:     hidden_global_offset_z
      - .offset:         112
        .size:           2
        .value_kind:     hidden_grid_dims
    .group_segment_fixed_size: 0
    .kernarg_segment_align: 8
    .kernarg_segment_size: 304
    .language:       OpenCL C
    .language_version:
      - 2
      - 0
    .max_flat_workgroup_size: 128
    .name:           _ZN12_GLOBAL__N_141elementwise_kernel_with_index_grid_strideIlZZZN2at6native17logspace_cuda_outERKN3c106ScalarES6_ldRNS1_6TensorEENKUlvE0_clEvENKUlvE3_clEvEUllE_EEvT_T0_PN15function_traitsISD_E11result_typeE
    .private_segment_fixed_size: 0
    .sgpr_count:     36
    .sgpr_spill_count: 0
    .symbol:         _ZN12_GLOBAL__N_141elementwise_kernel_with_index_grid_strideIlZZZN2at6native17logspace_cuda_outERKN3c106ScalarES6_ldRNS1_6TensorEENKUlvE0_clEvENKUlvE3_clEvEUllE_EEvT_T0_PN15function_traitsISD_E11result_typeE.kd
    .uniform_work_group_size: 1
    .uses_dynamic_stack: false
    .vgpr_count:     28
    .vgpr_spill_count: 0
    .wavefront_size: 64
  - .agpr_count:     0
    .args:
      - .offset:         0
        .size:           4
        .value_kind:     by_value
      - .offset:         8
        .size:           32
        .value_kind:     by_value
      - .address_space:  global
        .offset:         40
        .size:           8
        .value_kind:     global_buffer
      - .offset:         48
        .size:           4
        .value_kind:     hidden_block_count_x
      - .offset:         52
        .size:           4
        .value_kind:     hidden_block_count_y
      - .offset:         56
        .size:           4
        .value_kind:     hidden_block_count_z
      - .offset:         60
        .size:           2
        .value_kind:     hidden_group_size_x
      - .offset:         62
        .size:           2
        .value_kind:     hidden_group_size_y
      - .offset:         64
        .size:           2
        .value_kind:     hidden_group_size_z
      - .offset:         66
        .size:           2
        .value_kind:     hidden_remainder_x
      - .offset:         68
        .size:           2
        .value_kind:     hidden_remainder_y
      - .offset:         70
        .size:           2
        .value_kind:     hidden_remainder_z
      - .offset:         88
        .size:           8
        .value_kind:     hidden_global_offset_x
      - .offset:         96
        .size:           8
        .value_kind:     hidden_global_offset_y
      - .offset:         104
        .size:           8
        .value_kind:     hidden_global_offset_z
      - .offset:         112
        .size:           2
        .value_kind:     hidden_grid_dims
    .group_segment_fixed_size: 0
    .kernarg_segment_align: 8
    .kernarg_segment_size: 304
    .language:       OpenCL C
    .language_version:
      - 2
      - 0
    .max_flat_workgroup_size: 128
    .name:           _ZN12_GLOBAL__N_141elementwise_kernel_with_index_grid_strideIiZZZN2at6native17logspace_cuda_outERKN3c106ScalarES6_ldRNS1_6TensorEENKUlvE0_clEvENKUlvE4_clEvEUllE_EEvT_T0_PN15function_traitsISD_E11result_typeE
    .private_segment_fixed_size: 0
    .sgpr_count:     38
    .sgpr_spill_count: 0
    .symbol:         _ZN12_GLOBAL__N_141elementwise_kernel_with_index_grid_strideIiZZZN2at6native17logspace_cuda_outERKN3c106ScalarES6_ldRNS1_6TensorEENKUlvE0_clEvENKUlvE4_clEvEUllE_EEvT_T0_PN15function_traitsISD_E11result_typeE.kd
    .uniform_work_group_size: 1
    .uses_dynamic_stack: false
    .vgpr_count:     31
    .vgpr_spill_count: 0
    .wavefront_size: 64
  - .agpr_count:     0
    .args:
      - .offset:         0
        .size:           8
        .value_kind:     by_value
      - .offset:         8
        .size:           32
        .value_kind:     by_value
      - .address_space:  global
        .offset:         40
        .size:           8
        .value_kind:     global_buffer
      - .offset:         48
        .size:           4
        .value_kind:     hidden_block_count_x
      - .offset:         52
        .size:           4
        .value_kind:     hidden_block_count_y
      - .offset:         56
        .size:           4
        .value_kind:     hidden_block_count_z
      - .offset:         60
        .size:           2
        .value_kind:     hidden_group_size_x
      - .offset:         62
        .size:           2
        .value_kind:     hidden_group_size_y
      - .offset:         64
        .size:           2
        .value_kind:     hidden_group_size_z
      - .offset:         66
        .size:           2
        .value_kind:     hidden_remainder_x
      - .offset:         68
        .size:           2
        .value_kind:     hidden_remainder_y
      - .offset:         70
        .size:           2
        .value_kind:     hidden_remainder_z
      - .offset:         88
        .size:           8
        .value_kind:     hidden_global_offset_x
      - .offset:         96
        .size:           8
        .value_kind:     hidden_global_offset_y
      - .offset:         104
        .size:           8
        .value_kind:     hidden_global_offset_z
      - .offset:         112
        .size:           2
        .value_kind:     hidden_grid_dims
    .group_segment_fixed_size: 0
    .kernarg_segment_align: 8
    .kernarg_segment_size: 304
    .language:       OpenCL C
    .language_version:
      - 2
      - 0
    .max_flat_workgroup_size: 128
    .name:           _ZN12_GLOBAL__N_141elementwise_kernel_with_index_grid_strideIlZZZN2at6native17logspace_cuda_outERKN3c106ScalarES6_ldRNS1_6TensorEENKUlvE0_clEvENKUlvE4_clEvEUllE_EEvT_T0_PN15function_traitsISD_E11result_typeE
    .private_segment_fixed_size: 0
    .sgpr_count:     42
    .sgpr_spill_count: 0
    .symbol:         _ZN12_GLOBAL__N_141elementwise_kernel_with_index_grid_strideIlZZZN2at6native17logspace_cuda_outERKN3c106ScalarES6_ldRNS1_6TensorEENKUlvE0_clEvENKUlvE4_clEvEUllE_EEvT_T0_PN15function_traitsISD_E11result_typeE.kd
    .uniform_work_group_size: 1
    .uses_dynamic_stack: false
    .vgpr_count:     31
    .vgpr_spill_count: 0
    .wavefront_size: 64
  - .agpr_count:     0
    .args:
      - .offset:         0
        .size:           4
        .value_kind:     by_value
      - .offset:         8
        .size:           16
        .value_kind:     by_value
      - .address_space:  global
        .offset:         24
        .size:           8
        .value_kind:     global_buffer
      - .offset:         32
        .size:           4
        .value_kind:     hidden_block_count_x
      - .offset:         36
        .size:           4
        .value_kind:     hidden_block_count_y
      - .offset:         40
        .size:           4
        .value_kind:     hidden_block_count_z
      - .offset:         44
        .size:           2
        .value_kind:     hidden_group_size_x
      - .offset:         46
        .size:           2
        .value_kind:     hidden_group_size_y
      - .offset:         48
        .size:           2
        .value_kind:     hidden_group_size_z
      - .offset:         50
        .size:           2
        .value_kind:     hidden_remainder_x
      - .offset:         52
        .size:           2
        .value_kind:     hidden_remainder_y
      - .offset:         54
        .size:           2
        .value_kind:     hidden_remainder_z
      - .offset:         72
        .size:           8
        .value_kind:     hidden_global_offset_x
      - .offset:         80
        .size:           8
        .value_kind:     hidden_global_offset_y
      - .offset:         88
        .size:           8
        .value_kind:     hidden_global_offset_z
      - .offset:         96
        .size:           2
        .value_kind:     hidden_grid_dims
    .group_segment_fixed_size: 0
    .kernarg_segment_align: 8
    .kernarg_segment_size: 288
    .language:       OpenCL C
    .language_version:
      - 2
      - 0
    .max_flat_workgroup_size: 128
    .name:           _ZN12_GLOBAL__N_141elementwise_kernel_with_index_grid_strideIiZZZN2at6native14range_cuda_outERKN3c106ScalarES6_S6_RNS1_6TensorEENKUlvE_clEvENKUlvE_clEvEUllE_EEvT_T0_PN15function_traitsISD_E11result_typeE
    .private_segment_fixed_size: 0
    .sgpr_count:     30
    .sgpr_spill_count: 0
    .symbol:         _ZN12_GLOBAL__N_141elementwise_kernel_with_index_grid_strideIiZZZN2at6native14range_cuda_outERKN3c106ScalarES6_S6_RNS1_6TensorEENKUlvE_clEvENKUlvE_clEvEUllE_EEvT_T0_PN15function_traitsISD_E11result_typeE.kd
    .uniform_work_group_size: 1
    .uses_dynamic_stack: false
    .vgpr_count:     34
    .vgpr_spill_count: 0
    .wavefront_size: 64
  - .agpr_count:     0
    .args:
      - .offset:         0
        .size:           8
        .value_kind:     by_value
      - .offset:         8
        .size:           16
        .value_kind:     by_value
      - .address_space:  global
        .offset:         24
        .size:           8
        .value_kind:     global_buffer
      - .offset:         32
        .size:           4
        .value_kind:     hidden_block_count_x
      - .offset:         36
        .size:           4
        .value_kind:     hidden_block_count_y
      - .offset:         40
        .size:           4
        .value_kind:     hidden_block_count_z
      - .offset:         44
        .size:           2
        .value_kind:     hidden_group_size_x
      - .offset:         46
        .size:           2
        .value_kind:     hidden_group_size_y
      - .offset:         48
        .size:           2
        .value_kind:     hidden_group_size_z
      - .offset:         50
        .size:           2
        .value_kind:     hidden_remainder_x
      - .offset:         52
        .size:           2
        .value_kind:     hidden_remainder_y
      - .offset:         54
        .size:           2
        .value_kind:     hidden_remainder_z
      - .offset:         72
        .size:           8
        .value_kind:     hidden_global_offset_x
      - .offset:         80
        .size:           8
        .value_kind:     hidden_global_offset_y
      - .offset:         88
        .size:           8
        .value_kind:     hidden_global_offset_z
      - .offset:         96
        .size:           2
        .value_kind:     hidden_grid_dims
    .group_segment_fixed_size: 0
    .kernarg_segment_align: 8
    .kernarg_segment_size: 288
    .language:       OpenCL C
    .language_version:
      - 2
      - 0
    .max_flat_workgroup_size: 128
    .name:           _ZN12_GLOBAL__N_141elementwise_kernel_with_index_grid_strideIlZZZN2at6native14range_cuda_outERKN3c106ScalarES6_S6_RNS1_6TensorEENKUlvE_clEvENKUlvE_clEvEUllE_EEvT_T0_PN15function_traitsISD_E11result_typeE
    .private_segment_fixed_size: 0
    .sgpr_count:     46
    .sgpr_spill_count: 0
    .symbol:         _ZN12_GLOBAL__N_141elementwise_kernel_with_index_grid_strideIlZZZN2at6native14range_cuda_outERKN3c106ScalarES6_S6_RNS1_6TensorEENKUlvE_clEvENKUlvE_clEvEUllE_EEvT_T0_PN15function_traitsISD_E11result_typeE.kd
    .uniform_work_group_size: 1
    .uses_dynamic_stack: false
    .vgpr_count:     42
    .vgpr_spill_count: 0
    .wavefront_size: 64
  - .agpr_count:     0
    .args:
      - .offset:         0
        .size:           4
        .value_kind:     by_value
      - .offset:         8
        .size:           16
        .value_kind:     by_value
      - .address_space:  global
        .offset:         24
        .size:           8
        .value_kind:     global_buffer
      - .offset:         32
        .size:           4
        .value_kind:     hidden_block_count_x
      - .offset:         36
        .size:           4
        .value_kind:     hidden_block_count_y
      - .offset:         40
        .size:           4
        .value_kind:     hidden_block_count_z
      - .offset:         44
        .size:           2
        .value_kind:     hidden_group_size_x
      - .offset:         46
        .size:           2
        .value_kind:     hidden_group_size_y
      - .offset:         48
        .size:           2
        .value_kind:     hidden_group_size_z
      - .offset:         50
        .size:           2
        .value_kind:     hidden_remainder_x
      - .offset:         52
        .size:           2
        .value_kind:     hidden_remainder_y
      - .offset:         54
        .size:           2
        .value_kind:     hidden_remainder_z
      - .offset:         72
        .size:           8
        .value_kind:     hidden_global_offset_x
      - .offset:         80
        .size:           8
        .value_kind:     hidden_global_offset_y
      - .offset:         88
        .size:           8
        .value_kind:     hidden_global_offset_z
      - .offset:         96
        .size:           2
        .value_kind:     hidden_grid_dims
    .group_segment_fixed_size: 0
    .kernarg_segment_align: 8
    .kernarg_segment_size: 288
    .language:       OpenCL C
    .language_version:
      - 2
      - 0
    .max_flat_workgroup_size: 128
    .name:           _ZN12_GLOBAL__N_141elementwise_kernel_with_index_grid_strideIiZZZN2at6native14range_cuda_outERKN3c106ScalarES6_S6_RNS1_6TensorEENKUlvE_clEvENKUlvE0_clEvEUllE_EEvT_T0_PN15function_traitsISD_E11result_typeE
    .private_segment_fixed_size: 0
    .sgpr_count:     30
    .sgpr_spill_count: 0
    .symbol:         _ZN12_GLOBAL__N_141elementwise_kernel_with_index_grid_strideIiZZZN2at6native14range_cuda_outERKN3c106ScalarES6_S6_RNS1_6TensorEENKUlvE_clEvENKUlvE0_clEvEUllE_EEvT_T0_PN15function_traitsISD_E11result_typeE.kd
    .uniform_work_group_size: 1
    .uses_dynamic_stack: false
    .vgpr_count:     34
    .vgpr_spill_count: 0
    .wavefront_size: 64
  - .agpr_count:     0
    .args:
      - .offset:         0
        .size:           8
        .value_kind:     by_value
      - .offset:         8
        .size:           16
        .value_kind:     by_value
      - .address_space:  global
        .offset:         24
        .size:           8
        .value_kind:     global_buffer
      - .offset:         32
        .size:           4
        .value_kind:     hidden_block_count_x
      - .offset:         36
        .size:           4
        .value_kind:     hidden_block_count_y
      - .offset:         40
        .size:           4
        .value_kind:     hidden_block_count_z
      - .offset:         44
        .size:           2
        .value_kind:     hidden_group_size_x
      - .offset:         46
        .size:           2
        .value_kind:     hidden_group_size_y
      - .offset:         48
        .size:           2
        .value_kind:     hidden_group_size_z
      - .offset:         50
        .size:           2
        .value_kind:     hidden_remainder_x
      - .offset:         52
        .size:           2
        .value_kind:     hidden_remainder_y
      - .offset:         54
        .size:           2
        .value_kind:     hidden_remainder_z
      - .offset:         72
        .size:           8
        .value_kind:     hidden_global_offset_x
      - .offset:         80
        .size:           8
        .value_kind:     hidden_global_offset_y
      - .offset:         88
        .size:           8
        .value_kind:     hidden_global_offset_z
      - .offset:         96
        .size:           2
        .value_kind:     hidden_grid_dims
    .group_segment_fixed_size: 0
    .kernarg_segment_align: 8
    .kernarg_segment_size: 288
    .language:       OpenCL C
    .language_version:
      - 2
      - 0
    .max_flat_workgroup_size: 128
    .name:           _ZN12_GLOBAL__N_141elementwise_kernel_with_index_grid_strideIlZZZN2at6native14range_cuda_outERKN3c106ScalarES6_S6_RNS1_6TensorEENKUlvE_clEvENKUlvE0_clEvEUllE_EEvT_T0_PN15function_traitsISD_E11result_typeE
    .private_segment_fixed_size: 0
    .sgpr_count:     46
    .sgpr_spill_count: 0
    .symbol:         _ZN12_GLOBAL__N_141elementwise_kernel_with_index_grid_strideIlZZZN2at6native14range_cuda_outERKN3c106ScalarES6_S6_RNS1_6TensorEENKUlvE_clEvENKUlvE0_clEvEUllE_EEvT_T0_PN15function_traitsISD_E11result_typeE.kd
    .uniform_work_group_size: 1
    .uses_dynamic_stack: false
    .vgpr_count:     42
    .vgpr_spill_count: 0
    .wavefront_size: 64
  - .agpr_count:     0
    .args:
      - .offset:         0
        .size:           4
        .value_kind:     by_value
      - .offset:         8
        .size:           16
        .value_kind:     by_value
      - .address_space:  global
        .offset:         24
        .size:           8
        .value_kind:     global_buffer
      - .offset:         32
        .size:           4
        .value_kind:     hidden_block_count_x
      - .offset:         36
        .size:           4
        .value_kind:     hidden_block_count_y
      - .offset:         40
        .size:           4
        .value_kind:     hidden_block_count_z
      - .offset:         44
        .size:           2
        .value_kind:     hidden_group_size_x
      - .offset:         46
        .size:           2
        .value_kind:     hidden_group_size_y
      - .offset:         48
        .size:           2
        .value_kind:     hidden_group_size_z
      - .offset:         50
        .size:           2
        .value_kind:     hidden_remainder_x
      - .offset:         52
        .size:           2
        .value_kind:     hidden_remainder_y
      - .offset:         54
        .size:           2
        .value_kind:     hidden_remainder_z
      - .offset:         72
        .size:           8
        .value_kind:     hidden_global_offset_x
      - .offset:         80
        .size:           8
        .value_kind:     hidden_global_offset_y
      - .offset:         88
        .size:           8
        .value_kind:     hidden_global_offset_z
      - .offset:         96
        .size:           2
        .value_kind:     hidden_grid_dims
    .group_segment_fixed_size: 0
    .kernarg_segment_align: 8
    .kernarg_segment_size: 288
    .language:       OpenCL C
    .language_version:
      - 2
      - 0
    .max_flat_workgroup_size: 128
    .name:           _ZN12_GLOBAL__N_141elementwise_kernel_with_index_grid_strideIiZZZN2at6native14range_cuda_outERKN3c106ScalarES6_S6_RNS1_6TensorEENKUlvE_clEvENKUlvE1_clEvEUllE_EEvT_T0_PN15function_traitsISD_E11result_typeE
    .private_segment_fixed_size: 0
    .sgpr_count:     22
    .sgpr_spill_count: 0
    .symbol:         _ZN12_GLOBAL__N_141elementwise_kernel_with_index_grid_strideIiZZZN2at6native14range_cuda_outERKN3c106ScalarES6_S6_RNS1_6TensorEENKUlvE_clEvENKUlvE1_clEvEUllE_EEvT_T0_PN15function_traitsISD_E11result_typeE.kd
    .uniform_work_group_size: 1
    .uses_dynamic_stack: false
    .vgpr_count:     12
    .vgpr_spill_count: 0
    .wavefront_size: 64
  - .agpr_count:     0
    .args:
      - .offset:         0
        .size:           8
        .value_kind:     by_value
      - .offset:         8
        .size:           16
        .value_kind:     by_value
      - .address_space:  global
        .offset:         24
        .size:           8
        .value_kind:     global_buffer
      - .offset:         32
        .size:           4
        .value_kind:     hidden_block_count_x
      - .offset:         36
        .size:           4
        .value_kind:     hidden_block_count_y
      - .offset:         40
        .size:           4
        .value_kind:     hidden_block_count_z
      - .offset:         44
        .size:           2
        .value_kind:     hidden_group_size_x
      - .offset:         46
        .size:           2
        .value_kind:     hidden_group_size_y
      - .offset:         48
        .size:           2
        .value_kind:     hidden_group_size_z
      - .offset:         50
        .size:           2
        .value_kind:     hidden_remainder_x
      - .offset:         52
        .size:           2
        .value_kind:     hidden_remainder_y
      - .offset:         54
        .size:           2
        .value_kind:     hidden_remainder_z
      - .offset:         72
        .size:           8
        .value_kind:     hidden_global_offset_x
      - .offset:         80
        .size:           8
        .value_kind:     hidden_global_offset_y
      - .offset:         88
        .size:           8
        .value_kind:     hidden_global_offset_z
      - .offset:         96
        .size:           2
        .value_kind:     hidden_grid_dims
    .group_segment_fixed_size: 0
    .kernarg_segment_align: 8
    .kernarg_segment_size: 288
    .language:       OpenCL C
    .language_version:
      - 2
      - 0
    .max_flat_workgroup_size: 128
    .name:           _ZN12_GLOBAL__N_141elementwise_kernel_with_index_grid_strideIlZZZN2at6native14range_cuda_outERKN3c106ScalarES6_S6_RNS1_6TensorEENKUlvE_clEvENKUlvE1_clEvEUllE_EEvT_T0_PN15function_traitsISD_E11result_typeE
    .private_segment_fixed_size: 0
    .sgpr_count:     32
    .sgpr_spill_count: 0
    .symbol:         _ZN12_GLOBAL__N_141elementwise_kernel_with_index_grid_strideIlZZZN2at6native14range_cuda_outERKN3c106ScalarES6_S6_RNS1_6TensorEENKUlvE_clEvENKUlvE1_clEvEUllE_EEvT_T0_PN15function_traitsISD_E11result_typeE.kd
    .uniform_work_group_size: 1
    .uses_dynamic_stack: false
    .vgpr_count:     18
    .vgpr_spill_count: 0
    .wavefront_size: 64
  - .agpr_count:     0
    .args:
      - .offset:         0
        .size:           4
        .value_kind:     by_value
      - .offset:         8
        .size:           16
        .value_kind:     by_value
      - .address_space:  global
        .offset:         24
        .size:           8
        .value_kind:     global_buffer
      - .offset:         32
        .size:           4
        .value_kind:     hidden_block_count_x
      - .offset:         36
        .size:           4
        .value_kind:     hidden_block_count_y
      - .offset:         40
        .size:           4
        .value_kind:     hidden_block_count_z
      - .offset:         44
        .size:           2
        .value_kind:     hidden_group_size_x
      - .offset:         46
        .size:           2
        .value_kind:     hidden_group_size_y
      - .offset:         48
        .size:           2
        .value_kind:     hidden_group_size_z
      - .offset:         50
        .size:           2
        .value_kind:     hidden_remainder_x
      - .offset:         52
        .size:           2
        .value_kind:     hidden_remainder_y
      - .offset:         54
        .size:           2
        .value_kind:     hidden_remainder_z
      - .offset:         72
        .size:           8
        .value_kind:     hidden_global_offset_x
      - .offset:         80
        .size:           8
        .value_kind:     hidden_global_offset_y
      - .offset:         88
        .size:           8
        .value_kind:     hidden_global_offset_z
      - .offset:         96
        .size:           2
        .value_kind:     hidden_grid_dims
    .group_segment_fixed_size: 0
    .kernarg_segment_align: 8
    .kernarg_segment_size: 288
    .language:       OpenCL C
    .language_version:
      - 2
      - 0
    .max_flat_workgroup_size: 128
    .name:           _ZN12_GLOBAL__N_141elementwise_kernel_with_index_grid_strideIiZZZN2at6native14range_cuda_outERKN3c106ScalarES6_S6_RNS1_6TensorEENKUlvE_clEvENKUlvE2_clEvEUllE_EEvT_T0_PN15function_traitsISD_E11result_typeE
    .private_segment_fixed_size: 0
    .sgpr_count:     22
    .sgpr_spill_count: 0
    .symbol:         _ZN12_GLOBAL__N_141elementwise_kernel_with_index_grid_strideIiZZZN2at6native14range_cuda_outERKN3c106ScalarES6_S6_RNS1_6TensorEENKUlvE_clEvENKUlvE2_clEvEUllE_EEvT_T0_PN15function_traitsISD_E11result_typeE.kd
    .uniform_work_group_size: 1
    .uses_dynamic_stack: false
    .vgpr_count:     7
    .vgpr_spill_count: 0
    .wavefront_size: 64
  - .agpr_count:     0
    .args:
      - .offset:         0
        .size:           8
        .value_kind:     by_value
      - .offset:         8
        .size:           16
        .value_kind:     by_value
      - .address_space:  global
        .offset:         24
        .size:           8
        .value_kind:     global_buffer
      - .offset:         32
        .size:           4
        .value_kind:     hidden_block_count_x
      - .offset:         36
        .size:           4
        .value_kind:     hidden_block_count_y
      - .offset:         40
        .size:           4
        .value_kind:     hidden_block_count_z
      - .offset:         44
        .size:           2
        .value_kind:     hidden_group_size_x
      - .offset:         46
        .size:           2
        .value_kind:     hidden_group_size_y
      - .offset:         48
        .size:           2
        .value_kind:     hidden_group_size_z
      - .offset:         50
        .size:           2
        .value_kind:     hidden_remainder_x
      - .offset:         52
        .size:           2
        .value_kind:     hidden_remainder_y
      - .offset:         54
        .size:           2
        .value_kind:     hidden_remainder_z
      - .offset:         72
        .size:           8
        .value_kind:     hidden_global_offset_x
      - .offset:         80
        .size:           8
        .value_kind:     hidden_global_offset_y
      - .offset:         88
        .size:           8
        .value_kind:     hidden_global_offset_z
      - .offset:         96
        .size:           2
        .value_kind:     hidden_grid_dims
    .group_segment_fixed_size: 0
    .kernarg_segment_align: 8
    .kernarg_segment_size: 288
    .language:       OpenCL C
    .language_version:
      - 2
      - 0
    .max_flat_workgroup_size: 128
    .name:           _ZN12_GLOBAL__N_141elementwise_kernel_with_index_grid_strideIlZZZN2at6native14range_cuda_outERKN3c106ScalarES6_S6_RNS1_6TensorEENKUlvE_clEvENKUlvE2_clEvEUllE_EEvT_T0_PN15function_traitsISD_E11result_typeE
    .private_segment_fixed_size: 0
    .sgpr_count:     20
    .sgpr_spill_count: 0
    .symbol:         _ZN12_GLOBAL__N_141elementwise_kernel_with_index_grid_strideIlZZZN2at6native14range_cuda_outERKN3c106ScalarES6_S6_RNS1_6TensorEENKUlvE_clEvENKUlvE2_clEvEUllE_EEvT_T0_PN15function_traitsISD_E11result_typeE.kd
    .uniform_work_group_size: 1
    .uses_dynamic_stack: false
    .vgpr_count:     8
    .vgpr_spill_count: 0
    .wavefront_size: 64
  - .agpr_count:     0
    .args:
      - .offset:         0
        .size:           4
        .value_kind:     by_value
      - .offset:         8
        .size:           16
        .value_kind:     by_value
      - .address_space:  global
        .offset:         24
        .size:           8
        .value_kind:     global_buffer
      - .offset:         32
        .size:           4
        .value_kind:     hidden_block_count_x
      - .offset:         36
        .size:           4
        .value_kind:     hidden_block_count_y
      - .offset:         40
        .size:           4
        .value_kind:     hidden_block_count_z
      - .offset:         44
        .size:           2
        .value_kind:     hidden_group_size_x
      - .offset:         46
        .size:           2
        .value_kind:     hidden_group_size_y
      - .offset:         48
        .size:           2
        .value_kind:     hidden_group_size_z
      - .offset:         50
        .size:           2
        .value_kind:     hidden_remainder_x
      - .offset:         52
        .size:           2
        .value_kind:     hidden_remainder_y
      - .offset:         54
        .size:           2
        .value_kind:     hidden_remainder_z
      - .offset:         72
        .size:           8
        .value_kind:     hidden_global_offset_x
      - .offset:         80
        .size:           8
        .value_kind:     hidden_global_offset_y
      - .offset:         88
        .size:           8
        .value_kind:     hidden_global_offset_z
      - .offset:         96
        .size:           2
        .value_kind:     hidden_grid_dims
    .group_segment_fixed_size: 0
    .kernarg_segment_align: 8
    .kernarg_segment_size: 288
    .language:       OpenCL C
    .language_version:
      - 2
      - 0
    .max_flat_workgroup_size: 128
    .name:           _ZN12_GLOBAL__N_141elementwise_kernel_with_index_grid_strideIiZZZN2at6native14range_cuda_outERKN3c106ScalarES6_S6_RNS1_6TensorEENKUlvE_clEvENKUlvE3_clEvEUllE_EEvT_T0_PN15function_traitsISD_E11result_typeE
    .private_segment_fixed_size: 0
    .sgpr_count:     30
    .sgpr_spill_count: 0
    .symbol:         _ZN12_GLOBAL__N_141elementwise_kernel_with_index_grid_strideIiZZZN2at6native14range_cuda_outERKN3c106ScalarES6_S6_RNS1_6TensorEENKUlvE_clEvENKUlvE3_clEvEUllE_EEvT_T0_PN15function_traitsISD_E11result_typeE.kd
    .uniform_work_group_size: 1
    .uses_dynamic_stack: false
    .vgpr_count:     20
    .vgpr_spill_count: 0
    .wavefront_size: 64
  - .agpr_count:     0
    .args:
      - .offset:         0
        .size:           8
        .value_kind:     by_value
      - .offset:         8
        .size:           16
        .value_kind:     by_value
      - .address_space:  global
        .offset:         24
        .size:           8
        .value_kind:     global_buffer
      - .offset:         32
        .size:           4
        .value_kind:     hidden_block_count_x
      - .offset:         36
        .size:           4
        .value_kind:     hidden_block_count_y
      - .offset:         40
        .size:           4
        .value_kind:     hidden_block_count_z
      - .offset:         44
        .size:           2
        .value_kind:     hidden_group_size_x
      - .offset:         46
        .size:           2
        .value_kind:     hidden_group_size_y
      - .offset:         48
        .size:           2
        .value_kind:     hidden_group_size_z
      - .offset:         50
        .size:           2
        .value_kind:     hidden_remainder_x
      - .offset:         52
        .size:           2
        .value_kind:     hidden_remainder_y
      - .offset:         54
        .size:           2
        .value_kind:     hidden_remainder_z
      - .offset:         72
        .size:           8
        .value_kind:     hidden_global_offset_x
      - .offset:         80
        .size:           8
        .value_kind:     hidden_global_offset_y
      - .offset:         88
        .size:           8
        .value_kind:     hidden_global_offset_z
      - .offset:         96
        .size:           2
        .value_kind:     hidden_grid_dims
    .group_segment_fixed_size: 0
    .kernarg_segment_align: 8
    .kernarg_segment_size: 288
    .language:       OpenCL C
    .language_version:
      - 2
      - 0
    .max_flat_workgroup_size: 128
    .name:           _ZN12_GLOBAL__N_141elementwise_kernel_with_index_grid_strideIlZZZN2at6native14range_cuda_outERKN3c106ScalarES6_S6_RNS1_6TensorEENKUlvE_clEvENKUlvE3_clEvEUllE_EEvT_T0_PN15function_traitsISD_E11result_typeE
    .private_segment_fixed_size: 0
    .sgpr_count:     45
    .sgpr_spill_count: 0
    .symbol:         _ZN12_GLOBAL__N_141elementwise_kernel_with_index_grid_strideIlZZZN2at6native14range_cuda_outERKN3c106ScalarES6_S6_RNS1_6TensorEENKUlvE_clEvENKUlvE3_clEvEUllE_EEvT_T0_PN15function_traitsISD_E11result_typeE.kd
    .uniform_work_group_size: 1
    .uses_dynamic_stack: false
    .vgpr_count:     28
    .vgpr_spill_count: 0
    .wavefront_size: 64
  - .agpr_count:     0
    .args:
      - .offset:         0
        .size:           4
        .value_kind:     by_value
      - .offset:         8
        .size:           16
        .value_kind:     by_value
      - .address_space:  global
        .offset:         24
        .size:           8
        .value_kind:     global_buffer
      - .offset:         32
        .size:           4
        .value_kind:     hidden_block_count_x
      - .offset:         36
        .size:           4
        .value_kind:     hidden_block_count_y
      - .offset:         40
        .size:           4
        .value_kind:     hidden_block_count_z
      - .offset:         44
        .size:           2
        .value_kind:     hidden_group_size_x
      - .offset:         46
        .size:           2
        .value_kind:     hidden_group_size_y
      - .offset:         48
        .size:           2
        .value_kind:     hidden_group_size_z
      - .offset:         50
        .size:           2
        .value_kind:     hidden_remainder_x
      - .offset:         52
        .size:           2
        .value_kind:     hidden_remainder_y
      - .offset:         54
        .size:           2
        .value_kind:     hidden_remainder_z
      - .offset:         72
        .size:           8
        .value_kind:     hidden_global_offset_x
      - .offset:         80
        .size:           8
        .value_kind:     hidden_global_offset_y
      - .offset:         88
        .size:           8
        .value_kind:     hidden_global_offset_z
      - .offset:         96
        .size:           2
        .value_kind:     hidden_grid_dims
    .group_segment_fixed_size: 0
    .kernarg_segment_align: 8
    .kernarg_segment_size: 288
    .language:       OpenCL C
    .language_version:
      - 2
      - 0
    .max_flat_workgroup_size: 128
    .name:           _ZN12_GLOBAL__N_141elementwise_kernel_with_index_grid_strideIiZZZN2at6native14range_cuda_outERKN3c106ScalarES6_S6_RNS1_6TensorEENKUlvE_clEvENKUlvE4_clEvEUllE_EEvT_T0_PN15function_traitsISD_E11result_typeE
    .private_segment_fixed_size: 0
    .sgpr_count:     20
    .sgpr_spill_count: 0
    .symbol:         _ZN12_GLOBAL__N_141elementwise_kernel_with_index_grid_strideIiZZZN2at6native14range_cuda_outERKN3c106ScalarES6_S6_RNS1_6TensorEENKUlvE_clEvENKUlvE4_clEvEUllE_EEvT_T0_PN15function_traitsISD_E11result_typeE.kd
    .uniform_work_group_size: 1
    .uses_dynamic_stack: false
    .vgpr_count:     8
    .vgpr_spill_count: 0
    .wavefront_size: 64
  - .agpr_count:     0
    .args:
      - .offset:         0
        .size:           8
        .value_kind:     by_value
      - .offset:         8
        .size:           16
        .value_kind:     by_value
      - .address_space:  global
        .offset:         24
        .size:           8
        .value_kind:     global_buffer
      - .offset:         32
        .size:           4
        .value_kind:     hidden_block_count_x
      - .offset:         36
        .size:           4
        .value_kind:     hidden_block_count_y
      - .offset:         40
        .size:           4
        .value_kind:     hidden_block_count_z
      - .offset:         44
        .size:           2
        .value_kind:     hidden_group_size_x
      - .offset:         46
        .size:           2
        .value_kind:     hidden_group_size_y
      - .offset:         48
        .size:           2
        .value_kind:     hidden_group_size_z
      - .offset:         50
        .size:           2
        .value_kind:     hidden_remainder_x
      - .offset:         52
        .size:           2
        .value_kind:     hidden_remainder_y
      - .offset:         54
        .size:           2
        .value_kind:     hidden_remainder_z
      - .offset:         72
        .size:           8
        .value_kind:     hidden_global_offset_x
      - .offset:         80
        .size:           8
        .value_kind:     hidden_global_offset_y
      - .offset:         88
        .size:           8
        .value_kind:     hidden_global_offset_z
      - .offset:         96
        .size:           2
        .value_kind:     hidden_grid_dims
    .group_segment_fixed_size: 0
    .kernarg_segment_align: 8
    .kernarg_segment_size: 288
    .language:       OpenCL C
    .language_version:
      - 2
      - 0
    .max_flat_workgroup_size: 128
    .name:           _ZN12_GLOBAL__N_141elementwise_kernel_with_index_grid_strideIlZZZN2at6native14range_cuda_outERKN3c106ScalarES6_S6_RNS1_6TensorEENKUlvE_clEvENKUlvE4_clEvEUllE_EEvT_T0_PN15function_traitsISD_E11result_typeE
    .private_segment_fixed_size: 0
    .sgpr_count:     20
    .sgpr_spill_count: 0
    .symbol:         _ZN12_GLOBAL__N_141elementwise_kernel_with_index_grid_strideIlZZZN2at6native14range_cuda_outERKN3c106ScalarES6_S6_RNS1_6TensorEENKUlvE_clEvENKUlvE4_clEvEUllE_EEvT_T0_PN15function_traitsISD_E11result_typeE.kd
    .uniform_work_group_size: 1
    .uses_dynamic_stack: false
    .vgpr_count:     10
    .vgpr_spill_count: 0
    .wavefront_size: 64
  - .agpr_count:     0
    .args:
      - .offset:         0
        .size:           4
        .value_kind:     by_value
      - .offset:         4
        .size:           8
        .value_kind:     by_value
      - .address_space:  global
        .offset:         16
        .size:           8
        .value_kind:     global_buffer
      - .offset:         24
        .size:           4
        .value_kind:     hidden_block_count_x
      - .offset:         28
        .size:           4
        .value_kind:     hidden_block_count_y
      - .offset:         32
        .size:           4
        .value_kind:     hidden_block_count_z
      - .offset:         36
        .size:           2
        .value_kind:     hidden_group_size_x
      - .offset:         38
        .size:           2
        .value_kind:     hidden_group_size_y
      - .offset:         40
        .size:           2
        .value_kind:     hidden_group_size_z
      - .offset:         42
        .size:           2
        .value_kind:     hidden_remainder_x
      - .offset:         44
        .size:           2
        .value_kind:     hidden_remainder_y
      - .offset:         46
        .size:           2
        .value_kind:     hidden_remainder_z
      - .offset:         64
        .size:           8
        .value_kind:     hidden_global_offset_x
      - .offset:         72
        .size:           8
        .value_kind:     hidden_global_offset_y
      - .offset:         80
        .size:           8
        .value_kind:     hidden_global_offset_z
      - .offset:         88
        .size:           2
        .value_kind:     hidden_grid_dims
    .group_segment_fixed_size: 0
    .kernarg_segment_align: 8
    .kernarg_segment_size: 280
    .language:       OpenCL C
    .language_version:
      - 2
      - 0
    .max_flat_workgroup_size: 128
    .name:           _ZN12_GLOBAL__N_141elementwise_kernel_with_index_grid_strideIiZZZN2at6native14range_cuda_outERKN3c106ScalarES6_S6_RNS1_6TensorEENKUlvE_clEvENKUlvE5_clEvEUllE_EEvT_T0_PN15function_traitsISD_E11result_typeE
    .private_segment_fixed_size: 0
    .sgpr_count:     22
    .sgpr_spill_count: 0
    .symbol:         _ZN12_GLOBAL__N_141elementwise_kernel_with_index_grid_strideIiZZZN2at6native14range_cuda_outERKN3c106ScalarES6_S6_RNS1_6TensorEENKUlvE_clEvENKUlvE5_clEvEUllE_EEvT_T0_PN15function_traitsISD_E11result_typeE.kd
    .uniform_work_group_size: 1
    .uses_dynamic_stack: false
    .vgpr_count:     16
    .vgpr_spill_count: 0
    .wavefront_size: 64
  - .agpr_count:     0
    .args:
      - .offset:         0
        .size:           8
        .value_kind:     by_value
      - .offset:         8
        .size:           8
        .value_kind:     by_value
      - .address_space:  global
        .offset:         16
        .size:           8
        .value_kind:     global_buffer
      - .offset:         24
        .size:           4
        .value_kind:     hidden_block_count_x
      - .offset:         28
        .size:           4
        .value_kind:     hidden_block_count_y
      - .offset:         32
        .size:           4
        .value_kind:     hidden_block_count_z
      - .offset:         36
        .size:           2
        .value_kind:     hidden_group_size_x
      - .offset:         38
        .size:           2
        .value_kind:     hidden_group_size_y
      - .offset:         40
        .size:           2
        .value_kind:     hidden_group_size_z
      - .offset:         42
        .size:           2
        .value_kind:     hidden_remainder_x
      - .offset:         44
        .size:           2
        .value_kind:     hidden_remainder_y
      - .offset:         46
        .size:           2
        .value_kind:     hidden_remainder_z
      - .offset:         64
        .size:           8
        .value_kind:     hidden_global_offset_x
      - .offset:         72
        .size:           8
        .value_kind:     hidden_global_offset_y
      - .offset:         80
        .size:           8
        .value_kind:     hidden_global_offset_z
      - .offset:         88
        .size:           2
        .value_kind:     hidden_grid_dims
    .group_segment_fixed_size: 0
    .kernarg_segment_align: 8
    .kernarg_segment_size: 280
    .language:       OpenCL C
    .language_version:
      - 2
      - 0
    .max_flat_workgroup_size: 128
    .name:           _ZN12_GLOBAL__N_141elementwise_kernel_with_index_grid_strideIlZZZN2at6native14range_cuda_outERKN3c106ScalarES6_S6_RNS1_6TensorEENKUlvE_clEvENKUlvE5_clEvEUllE_EEvT_T0_PN15function_traitsISD_E11result_typeE
    .private_segment_fixed_size: 0
    .sgpr_count:     30
    .sgpr_spill_count: 0
    .symbol:         _ZN12_GLOBAL__N_141elementwise_kernel_with_index_grid_strideIlZZZN2at6native14range_cuda_outERKN3c106ScalarES6_S6_RNS1_6TensorEENKUlvE_clEvENKUlvE5_clEvEUllE_EEvT_T0_PN15function_traitsISD_E11result_typeE.kd
    .uniform_work_group_size: 1
    .uses_dynamic_stack: false
    .vgpr_count:     24
    .vgpr_spill_count: 0
    .wavefront_size: 64
  - .agpr_count:     0
    .args:
      - .offset:         0
        .size:           4
        .value_kind:     by_value
      - .offset:         4
        .size:           8
        .value_kind:     by_value
      - .address_space:  global
        .offset:         16
        .size:           8
        .value_kind:     global_buffer
      - .offset:         24
        .size:           4
        .value_kind:     hidden_block_count_x
      - .offset:         28
        .size:           4
        .value_kind:     hidden_block_count_y
      - .offset:         32
        .size:           4
        .value_kind:     hidden_block_count_z
      - .offset:         36
        .size:           2
        .value_kind:     hidden_group_size_x
      - .offset:         38
        .size:           2
        .value_kind:     hidden_group_size_y
      - .offset:         40
        .size:           2
        .value_kind:     hidden_group_size_z
      - .offset:         42
        .size:           2
        .value_kind:     hidden_remainder_x
      - .offset:         44
        .size:           2
        .value_kind:     hidden_remainder_y
      - .offset:         46
        .size:           2
        .value_kind:     hidden_remainder_z
      - .offset:         64
        .size:           8
        .value_kind:     hidden_global_offset_x
      - .offset:         72
        .size:           8
        .value_kind:     hidden_global_offset_y
      - .offset:         80
        .size:           8
        .value_kind:     hidden_global_offset_z
      - .offset:         88
        .size:           2
        .value_kind:     hidden_grid_dims
    .group_segment_fixed_size: 0
    .kernarg_segment_align: 8
    .kernarg_segment_size: 280
    .language:       OpenCL C
    .language_version:
      - 2
      - 0
    .max_flat_workgroup_size: 128
    .name:           _ZN12_GLOBAL__N_141elementwise_kernel_with_index_grid_strideIiZZZN2at6native14range_cuda_outERKN3c106ScalarES6_S6_RNS1_6TensorEENKUlvE_clEvENKUlvE6_clEvEUllE_EEvT_T0_PN15function_traitsISD_E11result_typeE
    .private_segment_fixed_size: 0
    .sgpr_count:     26
    .sgpr_spill_count: 0
    .symbol:         _ZN12_GLOBAL__N_141elementwise_kernel_with_index_grid_strideIiZZZN2at6native14range_cuda_outERKN3c106ScalarES6_S6_RNS1_6TensorEENKUlvE_clEvENKUlvE6_clEvEUllE_EEvT_T0_PN15function_traitsISD_E11result_typeE.kd
    .uniform_work_group_size: 1
    .uses_dynamic_stack: false
    .vgpr_count:     26
    .vgpr_spill_count: 0
    .wavefront_size: 64
  - .agpr_count:     0
    .args:
      - .offset:         0
        .size:           8
        .value_kind:     by_value
      - .offset:         8
        .size:           8
        .value_kind:     by_value
      - .address_space:  global
        .offset:         16
        .size:           8
        .value_kind:     global_buffer
      - .offset:         24
        .size:           4
        .value_kind:     hidden_block_count_x
      - .offset:         28
        .size:           4
        .value_kind:     hidden_block_count_y
      - .offset:         32
        .size:           4
        .value_kind:     hidden_block_count_z
      - .offset:         36
        .size:           2
        .value_kind:     hidden_group_size_x
      - .offset:         38
        .size:           2
        .value_kind:     hidden_group_size_y
      - .offset:         40
        .size:           2
        .value_kind:     hidden_group_size_z
      - .offset:         42
        .size:           2
        .value_kind:     hidden_remainder_x
      - .offset:         44
        .size:           2
        .value_kind:     hidden_remainder_y
      - .offset:         46
        .size:           2
        .value_kind:     hidden_remainder_z
      - .offset:         64
        .size:           8
        .value_kind:     hidden_global_offset_x
      - .offset:         72
        .size:           8
        .value_kind:     hidden_global_offset_y
      - .offset:         80
        .size:           8
        .value_kind:     hidden_global_offset_z
      - .offset:         88
        .size:           2
        .value_kind:     hidden_grid_dims
    .group_segment_fixed_size: 0
    .kernarg_segment_align: 8
    .kernarg_segment_size: 280
    .language:       OpenCL C
    .language_version:
      - 2
      - 0
    .max_flat_workgroup_size: 128
    .name:           _ZN12_GLOBAL__N_141elementwise_kernel_with_index_grid_strideIlZZZN2at6native14range_cuda_outERKN3c106ScalarES6_S6_RNS1_6TensorEENKUlvE_clEvENKUlvE6_clEvEUllE_EEvT_T0_PN15function_traitsISD_E11result_typeE
    .private_segment_fixed_size: 0
    .sgpr_count:     38
    .sgpr_spill_count: 0
    .symbol:         _ZN12_GLOBAL__N_141elementwise_kernel_with_index_grid_strideIlZZZN2at6native14range_cuda_outERKN3c106ScalarES6_S6_RNS1_6TensorEENKUlvE_clEvENKUlvE6_clEvEUllE_EEvT_T0_PN15function_traitsISD_E11result_typeE.kd
    .uniform_work_group_size: 1
    .uses_dynamic_stack: false
    .vgpr_count:     40
    .vgpr_spill_count: 0
    .wavefront_size: 64
  - .agpr_count:     0
    .args:
      - .offset:         0
        .size:           4
        .value_kind:     by_value
      - .offset:         8
        .size:           16
        .value_kind:     by_value
      - .address_space:  global
        .offset:         24
        .size:           8
        .value_kind:     global_buffer
      - .offset:         32
        .size:           4
        .value_kind:     hidden_block_count_x
      - .offset:         36
        .size:           4
        .value_kind:     hidden_block_count_y
      - .offset:         40
        .size:           4
        .value_kind:     hidden_block_count_z
      - .offset:         44
        .size:           2
        .value_kind:     hidden_group_size_x
      - .offset:         46
        .size:           2
        .value_kind:     hidden_group_size_y
      - .offset:         48
        .size:           2
        .value_kind:     hidden_group_size_z
      - .offset:         50
        .size:           2
        .value_kind:     hidden_remainder_x
      - .offset:         52
        .size:           2
        .value_kind:     hidden_remainder_y
      - .offset:         54
        .size:           2
        .value_kind:     hidden_remainder_z
      - .offset:         72
        .size:           8
        .value_kind:     hidden_global_offset_x
      - .offset:         80
        .size:           8
        .value_kind:     hidden_global_offset_y
      - .offset:         88
        .size:           8
        .value_kind:     hidden_global_offset_z
      - .offset:         96
        .size:           2
        .value_kind:     hidden_grid_dims
    .group_segment_fixed_size: 0
    .kernarg_segment_align: 8
    .kernarg_segment_size: 288
    .language:       OpenCL C
    .language_version:
      - 2
      - 0
    .max_flat_workgroup_size: 128
    .name:           _ZN12_GLOBAL__N_141elementwise_kernel_with_index_grid_strideIiZZZN2at6native15arange_cuda_outERKN3c106ScalarES6_S6_RNS1_6TensorEENKUlvE_clEvENKUlvE_clEvEUllE_EEvT_T0_PN15function_traitsISD_E11result_typeE
    .private_segment_fixed_size: 0
    .sgpr_count:     30
    .sgpr_spill_count: 0
    .symbol:         _ZN12_GLOBAL__N_141elementwise_kernel_with_index_grid_strideIiZZZN2at6native15arange_cuda_outERKN3c106ScalarES6_S6_RNS1_6TensorEENKUlvE_clEvENKUlvE_clEvEUllE_EEvT_T0_PN15function_traitsISD_E11result_typeE.kd
    .uniform_work_group_size: 1
    .uses_dynamic_stack: false
    .vgpr_count:     34
    .vgpr_spill_count: 0
    .wavefront_size: 64
  - .agpr_count:     0
    .args:
      - .offset:         0
        .size:           8
        .value_kind:     by_value
      - .offset:         8
        .size:           16
        .value_kind:     by_value
      - .address_space:  global
        .offset:         24
        .size:           8
        .value_kind:     global_buffer
      - .offset:         32
        .size:           4
        .value_kind:     hidden_block_count_x
      - .offset:         36
        .size:           4
        .value_kind:     hidden_block_count_y
      - .offset:         40
        .size:           4
        .value_kind:     hidden_block_count_z
      - .offset:         44
        .size:           2
        .value_kind:     hidden_group_size_x
      - .offset:         46
        .size:           2
        .value_kind:     hidden_group_size_y
      - .offset:         48
        .size:           2
        .value_kind:     hidden_group_size_z
      - .offset:         50
        .size:           2
        .value_kind:     hidden_remainder_x
      - .offset:         52
        .size:           2
        .value_kind:     hidden_remainder_y
      - .offset:         54
        .size:           2
        .value_kind:     hidden_remainder_z
      - .offset:         72
        .size:           8
        .value_kind:     hidden_global_offset_x
      - .offset:         80
        .size:           8
        .value_kind:     hidden_global_offset_y
      - .offset:         88
        .size:           8
        .value_kind:     hidden_global_offset_z
      - .offset:         96
        .size:           2
        .value_kind:     hidden_grid_dims
    .group_segment_fixed_size: 0
    .kernarg_segment_align: 8
    .kernarg_segment_size: 288
    .language:       OpenCL C
    .language_version:
      - 2
      - 0
    .max_flat_workgroup_size: 128
    .name:           _ZN12_GLOBAL__N_141elementwise_kernel_with_index_grid_strideIlZZZN2at6native15arange_cuda_outERKN3c106ScalarES6_S6_RNS1_6TensorEENKUlvE_clEvENKUlvE_clEvEUllE_EEvT_T0_PN15function_traitsISD_E11result_typeE
    .private_segment_fixed_size: 0
    .sgpr_count:     46
    .sgpr_spill_count: 0
    .symbol:         _ZN12_GLOBAL__N_141elementwise_kernel_with_index_grid_strideIlZZZN2at6native15arange_cuda_outERKN3c106ScalarES6_S6_RNS1_6TensorEENKUlvE_clEvENKUlvE_clEvEUllE_EEvT_T0_PN15function_traitsISD_E11result_typeE.kd
    .uniform_work_group_size: 1
    .uses_dynamic_stack: false
    .vgpr_count:     42
    .vgpr_spill_count: 0
    .wavefront_size: 64
  - .agpr_count:     0
    .args:
      - .offset:         0
        .size:           4
        .value_kind:     by_value
      - .offset:         8
        .size:           16
        .value_kind:     by_value
      - .address_space:  global
        .offset:         24
        .size:           8
        .value_kind:     global_buffer
      - .offset:         32
        .size:           4
        .value_kind:     hidden_block_count_x
      - .offset:         36
        .size:           4
        .value_kind:     hidden_block_count_y
      - .offset:         40
        .size:           4
        .value_kind:     hidden_block_count_z
      - .offset:         44
        .size:           2
        .value_kind:     hidden_group_size_x
      - .offset:         46
        .size:           2
        .value_kind:     hidden_group_size_y
      - .offset:         48
        .size:           2
        .value_kind:     hidden_group_size_z
      - .offset:         50
        .size:           2
        .value_kind:     hidden_remainder_x
      - .offset:         52
        .size:           2
        .value_kind:     hidden_remainder_y
      - .offset:         54
        .size:           2
        .value_kind:     hidden_remainder_z
      - .offset:         72
        .size:           8
        .value_kind:     hidden_global_offset_x
      - .offset:         80
        .size:           8
        .value_kind:     hidden_global_offset_y
      - .offset:         88
        .size:           8
        .value_kind:     hidden_global_offset_z
      - .offset:         96
        .size:           2
        .value_kind:     hidden_grid_dims
    .group_segment_fixed_size: 0
    .kernarg_segment_align: 8
    .kernarg_segment_size: 288
    .language:       OpenCL C
    .language_version:
      - 2
      - 0
    .max_flat_workgroup_size: 128
    .name:           _ZN12_GLOBAL__N_141elementwise_kernel_with_index_grid_strideIiZZZN2at6native15arange_cuda_outERKN3c106ScalarES6_S6_RNS1_6TensorEENKUlvE_clEvENKUlvE0_clEvEUllE_EEvT_T0_PN15function_traitsISD_E11result_typeE
    .private_segment_fixed_size: 0
    .sgpr_count:     30
    .sgpr_spill_count: 0
    .symbol:         _ZN12_GLOBAL__N_141elementwise_kernel_with_index_grid_strideIiZZZN2at6native15arange_cuda_outERKN3c106ScalarES6_S6_RNS1_6TensorEENKUlvE_clEvENKUlvE0_clEvEUllE_EEvT_T0_PN15function_traitsISD_E11result_typeE.kd
    .uniform_work_group_size: 1
    .uses_dynamic_stack: false
    .vgpr_count:     34
    .vgpr_spill_count: 0
    .wavefront_size: 64
  - .agpr_count:     0
    .args:
      - .offset:         0
        .size:           8
        .value_kind:     by_value
      - .offset:         8
        .size:           16
        .value_kind:     by_value
      - .address_space:  global
        .offset:         24
        .size:           8
        .value_kind:     global_buffer
      - .offset:         32
        .size:           4
        .value_kind:     hidden_block_count_x
      - .offset:         36
        .size:           4
        .value_kind:     hidden_block_count_y
      - .offset:         40
        .size:           4
        .value_kind:     hidden_block_count_z
      - .offset:         44
        .size:           2
        .value_kind:     hidden_group_size_x
      - .offset:         46
        .size:           2
        .value_kind:     hidden_group_size_y
      - .offset:         48
        .size:           2
        .value_kind:     hidden_group_size_z
      - .offset:         50
        .size:           2
        .value_kind:     hidden_remainder_x
      - .offset:         52
        .size:           2
        .value_kind:     hidden_remainder_y
      - .offset:         54
        .size:           2
        .value_kind:     hidden_remainder_z
      - .offset:         72
        .size:           8
        .value_kind:     hidden_global_offset_x
      - .offset:         80
        .size:           8
        .value_kind:     hidden_global_offset_y
      - .offset:         88
        .size:           8
        .value_kind:     hidden_global_offset_z
      - .offset:         96
        .size:           2
        .value_kind:     hidden_grid_dims
    .group_segment_fixed_size: 0
    .kernarg_segment_align: 8
    .kernarg_segment_size: 288
    .language:       OpenCL C
    .language_version:
      - 2
      - 0
    .max_flat_workgroup_size: 128
    .name:           _ZN12_GLOBAL__N_141elementwise_kernel_with_index_grid_strideIlZZZN2at6native15arange_cuda_outERKN3c106ScalarES6_S6_RNS1_6TensorEENKUlvE_clEvENKUlvE0_clEvEUllE_EEvT_T0_PN15function_traitsISD_E11result_typeE
    .private_segment_fixed_size: 0
    .sgpr_count:     46
    .sgpr_spill_count: 0
    .symbol:         _ZN12_GLOBAL__N_141elementwise_kernel_with_index_grid_strideIlZZZN2at6native15arange_cuda_outERKN3c106ScalarES6_S6_RNS1_6TensorEENKUlvE_clEvENKUlvE0_clEvEUllE_EEvT_T0_PN15function_traitsISD_E11result_typeE.kd
    .uniform_work_group_size: 1
    .uses_dynamic_stack: false
    .vgpr_count:     42
    .vgpr_spill_count: 0
    .wavefront_size: 64
  - .agpr_count:     0
    .args:
      - .offset:         0
        .size:           4
        .value_kind:     by_value
      - .offset:         8
        .size:           16
        .value_kind:     by_value
      - .address_space:  global
        .offset:         24
        .size:           8
        .value_kind:     global_buffer
      - .offset:         32
        .size:           4
        .value_kind:     hidden_block_count_x
      - .offset:         36
        .size:           4
        .value_kind:     hidden_block_count_y
      - .offset:         40
        .size:           4
        .value_kind:     hidden_block_count_z
      - .offset:         44
        .size:           2
        .value_kind:     hidden_group_size_x
      - .offset:         46
        .size:           2
        .value_kind:     hidden_group_size_y
      - .offset:         48
        .size:           2
        .value_kind:     hidden_group_size_z
      - .offset:         50
        .size:           2
        .value_kind:     hidden_remainder_x
      - .offset:         52
        .size:           2
        .value_kind:     hidden_remainder_y
      - .offset:         54
        .size:           2
        .value_kind:     hidden_remainder_z
      - .offset:         72
        .size:           8
        .value_kind:     hidden_global_offset_x
      - .offset:         80
        .size:           8
        .value_kind:     hidden_global_offset_y
      - .offset:         88
        .size:           8
        .value_kind:     hidden_global_offset_z
      - .offset:         96
        .size:           2
        .value_kind:     hidden_grid_dims
    .group_segment_fixed_size: 0
    .kernarg_segment_align: 8
    .kernarg_segment_size: 288
    .language:       OpenCL C
    .language_version:
      - 2
      - 0
    .max_flat_workgroup_size: 128
    .name:           _ZN12_GLOBAL__N_141elementwise_kernel_with_index_grid_strideIiZZZN2at6native15arange_cuda_outERKN3c106ScalarES6_S6_RNS1_6TensorEENKUlvE_clEvENKUlvE1_clEvEUllE_EEvT_T0_PN15function_traitsISD_E11result_typeE
    .private_segment_fixed_size: 0
    .sgpr_count:     22
    .sgpr_spill_count: 0
    .symbol:         _ZN12_GLOBAL__N_141elementwise_kernel_with_index_grid_strideIiZZZN2at6native15arange_cuda_outERKN3c106ScalarES6_S6_RNS1_6TensorEENKUlvE_clEvENKUlvE1_clEvEUllE_EEvT_T0_PN15function_traitsISD_E11result_typeE.kd
    .uniform_work_group_size: 1
    .uses_dynamic_stack: false
    .vgpr_count:     12
    .vgpr_spill_count: 0
    .wavefront_size: 64
  - .agpr_count:     0
    .args:
      - .offset:         0
        .size:           8
        .value_kind:     by_value
      - .offset:         8
        .size:           16
        .value_kind:     by_value
      - .address_space:  global
        .offset:         24
        .size:           8
        .value_kind:     global_buffer
      - .offset:         32
        .size:           4
        .value_kind:     hidden_block_count_x
      - .offset:         36
        .size:           4
        .value_kind:     hidden_block_count_y
      - .offset:         40
        .size:           4
        .value_kind:     hidden_block_count_z
      - .offset:         44
        .size:           2
        .value_kind:     hidden_group_size_x
      - .offset:         46
        .size:           2
        .value_kind:     hidden_group_size_y
      - .offset:         48
        .size:           2
        .value_kind:     hidden_group_size_z
      - .offset:         50
        .size:           2
        .value_kind:     hidden_remainder_x
      - .offset:         52
        .size:           2
        .value_kind:     hidden_remainder_y
      - .offset:         54
        .size:           2
        .value_kind:     hidden_remainder_z
      - .offset:         72
        .size:           8
        .value_kind:     hidden_global_offset_x
      - .offset:         80
        .size:           8
        .value_kind:     hidden_global_offset_y
      - .offset:         88
        .size:           8
        .value_kind:     hidden_global_offset_z
      - .offset:         96
        .size:           2
        .value_kind:     hidden_grid_dims
    .group_segment_fixed_size: 0
    .kernarg_segment_align: 8
    .kernarg_segment_size: 288
    .language:       OpenCL C
    .language_version:
      - 2
      - 0
    .max_flat_workgroup_size: 128
    .name:           _ZN12_GLOBAL__N_141elementwise_kernel_with_index_grid_strideIlZZZN2at6native15arange_cuda_outERKN3c106ScalarES6_S6_RNS1_6TensorEENKUlvE_clEvENKUlvE1_clEvEUllE_EEvT_T0_PN15function_traitsISD_E11result_typeE
    .private_segment_fixed_size: 0
    .sgpr_count:     32
    .sgpr_spill_count: 0
    .symbol:         _ZN12_GLOBAL__N_141elementwise_kernel_with_index_grid_strideIlZZZN2at6native15arange_cuda_outERKN3c106ScalarES6_S6_RNS1_6TensorEENKUlvE_clEvENKUlvE1_clEvEUllE_EEvT_T0_PN15function_traitsISD_E11result_typeE.kd
    .uniform_work_group_size: 1
    .uses_dynamic_stack: false
    .vgpr_count:     18
    .vgpr_spill_count: 0
    .wavefront_size: 64
  - .agpr_count:     0
    .args:
      - .offset:         0
        .size:           4
        .value_kind:     by_value
      - .offset:         8
        .size:           16
        .value_kind:     by_value
      - .address_space:  global
        .offset:         24
        .size:           8
        .value_kind:     global_buffer
      - .offset:         32
        .size:           4
        .value_kind:     hidden_block_count_x
      - .offset:         36
        .size:           4
        .value_kind:     hidden_block_count_y
      - .offset:         40
        .size:           4
        .value_kind:     hidden_block_count_z
      - .offset:         44
        .size:           2
        .value_kind:     hidden_group_size_x
      - .offset:         46
        .size:           2
        .value_kind:     hidden_group_size_y
      - .offset:         48
        .size:           2
        .value_kind:     hidden_group_size_z
      - .offset:         50
        .size:           2
        .value_kind:     hidden_remainder_x
      - .offset:         52
        .size:           2
        .value_kind:     hidden_remainder_y
      - .offset:         54
        .size:           2
        .value_kind:     hidden_remainder_z
      - .offset:         72
        .size:           8
        .value_kind:     hidden_global_offset_x
      - .offset:         80
        .size:           8
        .value_kind:     hidden_global_offset_y
      - .offset:         88
        .size:           8
        .value_kind:     hidden_global_offset_z
      - .offset:         96
        .size:           2
        .value_kind:     hidden_grid_dims
    .group_segment_fixed_size: 0
    .kernarg_segment_align: 8
    .kernarg_segment_size: 288
    .language:       OpenCL C
    .language_version:
      - 2
      - 0
    .max_flat_workgroup_size: 128
    .name:           _ZN12_GLOBAL__N_141elementwise_kernel_with_index_grid_strideIiZZZN2at6native15arange_cuda_outERKN3c106ScalarES6_S6_RNS1_6TensorEENKUlvE_clEvENKUlvE2_clEvEUllE_EEvT_T0_PN15function_traitsISD_E11result_typeE
    .private_segment_fixed_size: 0
    .sgpr_count:     22
    .sgpr_spill_count: 0
    .symbol:         _ZN12_GLOBAL__N_141elementwise_kernel_with_index_grid_strideIiZZZN2at6native15arange_cuda_outERKN3c106ScalarES6_S6_RNS1_6TensorEENKUlvE_clEvENKUlvE2_clEvEUllE_EEvT_T0_PN15function_traitsISD_E11result_typeE.kd
    .uniform_work_group_size: 1
    .uses_dynamic_stack: false
    .vgpr_count:     7
    .vgpr_spill_count: 0
    .wavefront_size: 64
  - .agpr_count:     0
    .args:
      - .offset:         0
        .size:           8
        .value_kind:     by_value
      - .offset:         8
        .size:           16
        .value_kind:     by_value
      - .address_space:  global
        .offset:         24
        .size:           8
        .value_kind:     global_buffer
      - .offset:         32
        .size:           4
        .value_kind:     hidden_block_count_x
      - .offset:         36
        .size:           4
        .value_kind:     hidden_block_count_y
      - .offset:         40
        .size:           4
        .value_kind:     hidden_block_count_z
      - .offset:         44
        .size:           2
        .value_kind:     hidden_group_size_x
      - .offset:         46
        .size:           2
        .value_kind:     hidden_group_size_y
      - .offset:         48
        .size:           2
        .value_kind:     hidden_group_size_z
      - .offset:         50
        .size:           2
        .value_kind:     hidden_remainder_x
      - .offset:         52
        .size:           2
        .value_kind:     hidden_remainder_y
      - .offset:         54
        .size:           2
        .value_kind:     hidden_remainder_z
      - .offset:         72
        .size:           8
        .value_kind:     hidden_global_offset_x
      - .offset:         80
        .size:           8
        .value_kind:     hidden_global_offset_y
      - .offset:         88
        .size:           8
        .value_kind:     hidden_global_offset_z
      - .offset:         96
        .size:           2
        .value_kind:     hidden_grid_dims
    .group_segment_fixed_size: 0
    .kernarg_segment_align: 8
    .kernarg_segment_size: 288
    .language:       OpenCL C
    .language_version:
      - 2
      - 0
    .max_flat_workgroup_size: 128
    .name:           _ZN12_GLOBAL__N_141elementwise_kernel_with_index_grid_strideIlZZZN2at6native15arange_cuda_outERKN3c106ScalarES6_S6_RNS1_6TensorEENKUlvE_clEvENKUlvE2_clEvEUllE_EEvT_T0_PN15function_traitsISD_E11result_typeE
    .private_segment_fixed_size: 0
    .sgpr_count:     20
    .sgpr_spill_count: 0
    .symbol:         _ZN12_GLOBAL__N_141elementwise_kernel_with_index_grid_strideIlZZZN2at6native15arange_cuda_outERKN3c106ScalarES6_S6_RNS1_6TensorEENKUlvE_clEvENKUlvE2_clEvEUllE_EEvT_T0_PN15function_traitsISD_E11result_typeE.kd
    .uniform_work_group_size: 1
    .uses_dynamic_stack: false
    .vgpr_count:     8
    .vgpr_spill_count: 0
    .wavefront_size: 64
  - .agpr_count:     0
    .args:
      - .offset:         0
        .size:           4
        .value_kind:     by_value
      - .offset:         8
        .size:           16
        .value_kind:     by_value
      - .address_space:  global
        .offset:         24
        .size:           8
        .value_kind:     global_buffer
      - .offset:         32
        .size:           4
        .value_kind:     hidden_block_count_x
      - .offset:         36
        .size:           4
        .value_kind:     hidden_block_count_y
      - .offset:         40
        .size:           4
        .value_kind:     hidden_block_count_z
      - .offset:         44
        .size:           2
        .value_kind:     hidden_group_size_x
      - .offset:         46
        .size:           2
        .value_kind:     hidden_group_size_y
      - .offset:         48
        .size:           2
        .value_kind:     hidden_group_size_z
      - .offset:         50
        .size:           2
        .value_kind:     hidden_remainder_x
      - .offset:         52
        .size:           2
        .value_kind:     hidden_remainder_y
      - .offset:         54
        .size:           2
        .value_kind:     hidden_remainder_z
      - .offset:         72
        .size:           8
        .value_kind:     hidden_global_offset_x
      - .offset:         80
        .size:           8
        .value_kind:     hidden_global_offset_y
      - .offset:         88
        .size:           8
        .value_kind:     hidden_global_offset_z
      - .offset:         96
        .size:           2
        .value_kind:     hidden_grid_dims
    .group_segment_fixed_size: 0
    .kernarg_segment_align: 8
    .kernarg_segment_size: 288
    .language:       OpenCL C
    .language_version:
      - 2
      - 0
    .max_flat_workgroup_size: 128
    .name:           _ZN12_GLOBAL__N_141elementwise_kernel_with_index_grid_strideIiZZZN2at6native15arange_cuda_outERKN3c106ScalarES6_S6_RNS1_6TensorEENKUlvE_clEvENKUlvE3_clEvEUllE_EEvT_T0_PN15function_traitsISD_E11result_typeE
    .private_segment_fixed_size: 0
    .sgpr_count:     30
    .sgpr_spill_count: 0
    .symbol:         _ZN12_GLOBAL__N_141elementwise_kernel_with_index_grid_strideIiZZZN2at6native15arange_cuda_outERKN3c106ScalarES6_S6_RNS1_6TensorEENKUlvE_clEvENKUlvE3_clEvEUllE_EEvT_T0_PN15function_traitsISD_E11result_typeE.kd
    .uniform_work_group_size: 1
    .uses_dynamic_stack: false
    .vgpr_count:     20
    .vgpr_spill_count: 0
    .wavefront_size: 64
  - .agpr_count:     0
    .args:
      - .offset:         0
        .size:           8
        .value_kind:     by_value
      - .offset:         8
        .size:           16
        .value_kind:     by_value
      - .address_space:  global
        .offset:         24
        .size:           8
        .value_kind:     global_buffer
      - .offset:         32
        .size:           4
        .value_kind:     hidden_block_count_x
      - .offset:         36
        .size:           4
        .value_kind:     hidden_block_count_y
      - .offset:         40
        .size:           4
        .value_kind:     hidden_block_count_z
      - .offset:         44
        .size:           2
        .value_kind:     hidden_group_size_x
      - .offset:         46
        .size:           2
        .value_kind:     hidden_group_size_y
      - .offset:         48
        .size:           2
        .value_kind:     hidden_group_size_z
      - .offset:         50
        .size:           2
        .value_kind:     hidden_remainder_x
      - .offset:         52
        .size:           2
        .value_kind:     hidden_remainder_y
      - .offset:         54
        .size:           2
        .value_kind:     hidden_remainder_z
      - .offset:         72
        .size:           8
        .value_kind:     hidden_global_offset_x
      - .offset:         80
        .size:           8
        .value_kind:     hidden_global_offset_y
      - .offset:         88
        .size:           8
        .value_kind:     hidden_global_offset_z
      - .offset:         96
        .size:           2
        .value_kind:     hidden_grid_dims
    .group_segment_fixed_size: 0
    .kernarg_segment_align: 8
    .kernarg_segment_size: 288
    .language:       OpenCL C
    .language_version:
      - 2
      - 0
    .max_flat_workgroup_size: 128
    .name:           _ZN12_GLOBAL__N_141elementwise_kernel_with_index_grid_strideIlZZZN2at6native15arange_cuda_outERKN3c106ScalarES6_S6_RNS1_6TensorEENKUlvE_clEvENKUlvE3_clEvEUllE_EEvT_T0_PN15function_traitsISD_E11result_typeE
    .private_segment_fixed_size: 0
    .sgpr_count:     45
    .sgpr_spill_count: 0
    .symbol:         _ZN12_GLOBAL__N_141elementwise_kernel_with_index_grid_strideIlZZZN2at6native15arange_cuda_outERKN3c106ScalarES6_S6_RNS1_6TensorEENKUlvE_clEvENKUlvE3_clEvEUllE_EEvT_T0_PN15function_traitsISD_E11result_typeE.kd
    .uniform_work_group_size: 1
    .uses_dynamic_stack: false
    .vgpr_count:     28
    .vgpr_spill_count: 0
    .wavefront_size: 64
  - .agpr_count:     0
    .args:
      - .offset:         0
        .size:           4
        .value_kind:     by_value
      - .offset:         8
        .size:           16
        .value_kind:     by_value
      - .address_space:  global
        .offset:         24
        .size:           8
        .value_kind:     global_buffer
      - .offset:         32
        .size:           4
        .value_kind:     hidden_block_count_x
      - .offset:         36
        .size:           4
        .value_kind:     hidden_block_count_y
      - .offset:         40
        .size:           4
        .value_kind:     hidden_block_count_z
      - .offset:         44
        .size:           2
        .value_kind:     hidden_group_size_x
      - .offset:         46
        .size:           2
        .value_kind:     hidden_group_size_y
      - .offset:         48
        .size:           2
        .value_kind:     hidden_group_size_z
      - .offset:         50
        .size:           2
        .value_kind:     hidden_remainder_x
      - .offset:         52
        .size:           2
        .value_kind:     hidden_remainder_y
      - .offset:         54
        .size:           2
        .value_kind:     hidden_remainder_z
      - .offset:         72
        .size:           8
        .value_kind:     hidden_global_offset_x
      - .offset:         80
        .size:           8
        .value_kind:     hidden_global_offset_y
      - .offset:         88
        .size:           8
        .value_kind:     hidden_global_offset_z
      - .offset:         96
        .size:           2
        .value_kind:     hidden_grid_dims
    .group_segment_fixed_size: 0
    .kernarg_segment_align: 8
    .kernarg_segment_size: 288
    .language:       OpenCL C
    .language_version:
      - 2
      - 0
    .max_flat_workgroup_size: 128
    .name:           _ZN12_GLOBAL__N_141elementwise_kernel_with_index_grid_strideIiZZZN2at6native15arange_cuda_outERKN3c106ScalarES6_S6_RNS1_6TensorEENKUlvE_clEvENKUlvE4_clEvEUllE_EEvT_T0_PN15function_traitsISD_E11result_typeE
    .private_segment_fixed_size: 0
    .sgpr_count:     20
    .sgpr_spill_count: 0
    .symbol:         _ZN12_GLOBAL__N_141elementwise_kernel_with_index_grid_strideIiZZZN2at6native15arange_cuda_outERKN3c106ScalarES6_S6_RNS1_6TensorEENKUlvE_clEvENKUlvE4_clEvEUllE_EEvT_T0_PN15function_traitsISD_E11result_typeE.kd
    .uniform_work_group_size: 1
    .uses_dynamic_stack: false
    .vgpr_count:     8
    .vgpr_spill_count: 0
    .wavefront_size: 64
  - .agpr_count:     0
    .args:
      - .offset:         0
        .size:           8
        .value_kind:     by_value
      - .offset:         8
        .size:           16
        .value_kind:     by_value
      - .address_space:  global
        .offset:         24
        .size:           8
        .value_kind:     global_buffer
      - .offset:         32
        .size:           4
        .value_kind:     hidden_block_count_x
      - .offset:         36
        .size:           4
        .value_kind:     hidden_block_count_y
      - .offset:         40
        .size:           4
        .value_kind:     hidden_block_count_z
      - .offset:         44
        .size:           2
        .value_kind:     hidden_group_size_x
      - .offset:         46
        .size:           2
        .value_kind:     hidden_group_size_y
      - .offset:         48
        .size:           2
        .value_kind:     hidden_group_size_z
      - .offset:         50
        .size:           2
        .value_kind:     hidden_remainder_x
      - .offset:         52
        .size:           2
        .value_kind:     hidden_remainder_y
      - .offset:         54
        .size:           2
        .value_kind:     hidden_remainder_z
      - .offset:         72
        .size:           8
        .value_kind:     hidden_global_offset_x
      - .offset:         80
        .size:           8
        .value_kind:     hidden_global_offset_y
      - .offset:         88
        .size:           8
        .value_kind:     hidden_global_offset_z
      - .offset:         96
        .size:           2
        .value_kind:     hidden_grid_dims
    .group_segment_fixed_size: 0
    .kernarg_segment_align: 8
    .kernarg_segment_size: 288
    .language:       OpenCL C
    .language_version:
      - 2
      - 0
    .max_flat_workgroup_size: 128
    .name:           _ZN12_GLOBAL__N_141elementwise_kernel_with_index_grid_strideIlZZZN2at6native15arange_cuda_outERKN3c106ScalarES6_S6_RNS1_6TensorEENKUlvE_clEvENKUlvE4_clEvEUllE_EEvT_T0_PN15function_traitsISD_E11result_typeE
    .private_segment_fixed_size: 0
    .sgpr_count:     20
    .sgpr_spill_count: 0
    .symbol:         _ZN12_GLOBAL__N_141elementwise_kernel_with_index_grid_strideIlZZZN2at6native15arange_cuda_outERKN3c106ScalarES6_S6_RNS1_6TensorEENKUlvE_clEvENKUlvE4_clEvEUllE_EEvT_T0_PN15function_traitsISD_E11result_typeE.kd
    .uniform_work_group_size: 1
    .uses_dynamic_stack: false
    .vgpr_count:     10
    .vgpr_spill_count: 0
    .wavefront_size: 64
  - .agpr_count:     0
    .args:
      - .offset:         0
        .size:           4
        .value_kind:     by_value
      - .offset:         4
        .size:           8
        .value_kind:     by_value
      - .address_space:  global
        .offset:         16
        .size:           8
        .value_kind:     global_buffer
      - .offset:         24
        .size:           4
        .value_kind:     hidden_block_count_x
      - .offset:         28
        .size:           4
        .value_kind:     hidden_block_count_y
      - .offset:         32
        .size:           4
        .value_kind:     hidden_block_count_z
      - .offset:         36
        .size:           2
        .value_kind:     hidden_group_size_x
      - .offset:         38
        .size:           2
        .value_kind:     hidden_group_size_y
      - .offset:         40
        .size:           2
        .value_kind:     hidden_group_size_z
      - .offset:         42
        .size:           2
        .value_kind:     hidden_remainder_x
      - .offset:         44
        .size:           2
        .value_kind:     hidden_remainder_y
      - .offset:         46
        .size:           2
        .value_kind:     hidden_remainder_z
      - .offset:         64
        .size:           8
        .value_kind:     hidden_global_offset_x
      - .offset:         72
        .size:           8
        .value_kind:     hidden_global_offset_y
      - .offset:         80
        .size:           8
        .value_kind:     hidden_global_offset_z
      - .offset:         88
        .size:           2
        .value_kind:     hidden_grid_dims
    .group_segment_fixed_size: 0
    .kernarg_segment_align: 8
    .kernarg_segment_size: 280
    .language:       OpenCL C
    .language_version:
      - 2
      - 0
    .max_flat_workgroup_size: 128
    .name:           _ZN12_GLOBAL__N_141elementwise_kernel_with_index_grid_strideIiZZZN2at6native15arange_cuda_outERKN3c106ScalarES6_S6_RNS1_6TensorEENKUlvE_clEvENKUlvE5_clEvEUllE_EEvT_T0_PN15function_traitsISD_E11result_typeE
    .private_segment_fixed_size: 0
    .sgpr_count:     22
    .sgpr_spill_count: 0
    .symbol:         _ZN12_GLOBAL__N_141elementwise_kernel_with_index_grid_strideIiZZZN2at6native15arange_cuda_outERKN3c106ScalarES6_S6_RNS1_6TensorEENKUlvE_clEvENKUlvE5_clEvEUllE_EEvT_T0_PN15function_traitsISD_E11result_typeE.kd
    .uniform_work_group_size: 1
    .uses_dynamic_stack: false
    .vgpr_count:     16
    .vgpr_spill_count: 0
    .wavefront_size: 64
  - .agpr_count:     0
    .args:
      - .offset:         0
        .size:           8
        .value_kind:     by_value
      - .offset:         8
        .size:           8
        .value_kind:     by_value
      - .address_space:  global
        .offset:         16
        .size:           8
        .value_kind:     global_buffer
      - .offset:         24
        .size:           4
        .value_kind:     hidden_block_count_x
      - .offset:         28
        .size:           4
        .value_kind:     hidden_block_count_y
      - .offset:         32
        .size:           4
        .value_kind:     hidden_block_count_z
      - .offset:         36
        .size:           2
        .value_kind:     hidden_group_size_x
      - .offset:         38
        .size:           2
        .value_kind:     hidden_group_size_y
      - .offset:         40
        .size:           2
        .value_kind:     hidden_group_size_z
      - .offset:         42
        .size:           2
        .value_kind:     hidden_remainder_x
      - .offset:         44
        .size:           2
        .value_kind:     hidden_remainder_y
      - .offset:         46
        .size:           2
        .value_kind:     hidden_remainder_z
      - .offset:         64
        .size:           8
        .value_kind:     hidden_global_offset_x
      - .offset:         72
        .size:           8
        .value_kind:     hidden_global_offset_y
      - .offset:         80
        .size:           8
        .value_kind:     hidden_global_offset_z
      - .offset:         88
        .size:           2
        .value_kind:     hidden_grid_dims
    .group_segment_fixed_size: 0
    .kernarg_segment_align: 8
    .kernarg_segment_size: 280
    .language:       OpenCL C
    .language_version:
      - 2
      - 0
    .max_flat_workgroup_size: 128
    .name:           _ZN12_GLOBAL__N_141elementwise_kernel_with_index_grid_strideIlZZZN2at6native15arange_cuda_outERKN3c106ScalarES6_S6_RNS1_6TensorEENKUlvE_clEvENKUlvE5_clEvEUllE_EEvT_T0_PN15function_traitsISD_E11result_typeE
    .private_segment_fixed_size: 0
    .sgpr_count:     30
    .sgpr_spill_count: 0
    .symbol:         _ZN12_GLOBAL__N_141elementwise_kernel_with_index_grid_strideIlZZZN2at6native15arange_cuda_outERKN3c106ScalarES6_S6_RNS1_6TensorEENKUlvE_clEvENKUlvE5_clEvEUllE_EEvT_T0_PN15function_traitsISD_E11result_typeE.kd
    .uniform_work_group_size: 1
    .uses_dynamic_stack: false
    .vgpr_count:     24
    .vgpr_spill_count: 0
    .wavefront_size: 64
  - .agpr_count:     0
    .args:
      - .offset:         0
        .size:           4
        .value_kind:     by_value
      - .offset:         4
        .size:           8
        .value_kind:     by_value
      - .address_space:  global
        .offset:         16
        .size:           8
        .value_kind:     global_buffer
      - .offset:         24
        .size:           4
        .value_kind:     hidden_block_count_x
      - .offset:         28
        .size:           4
        .value_kind:     hidden_block_count_y
      - .offset:         32
        .size:           4
        .value_kind:     hidden_block_count_z
      - .offset:         36
        .size:           2
        .value_kind:     hidden_group_size_x
      - .offset:         38
        .size:           2
        .value_kind:     hidden_group_size_y
      - .offset:         40
        .size:           2
        .value_kind:     hidden_group_size_z
      - .offset:         42
        .size:           2
        .value_kind:     hidden_remainder_x
      - .offset:         44
        .size:           2
        .value_kind:     hidden_remainder_y
      - .offset:         46
        .size:           2
        .value_kind:     hidden_remainder_z
      - .offset:         64
        .size:           8
        .value_kind:     hidden_global_offset_x
      - .offset:         72
        .size:           8
        .value_kind:     hidden_global_offset_y
      - .offset:         80
        .size:           8
        .value_kind:     hidden_global_offset_z
      - .offset:         88
        .size:           2
        .value_kind:     hidden_grid_dims
    .group_segment_fixed_size: 0
    .kernarg_segment_align: 8
    .kernarg_segment_size: 280
    .language:       OpenCL C
    .language_version:
      - 2
      - 0
    .max_flat_workgroup_size: 128
    .name:           _ZN12_GLOBAL__N_141elementwise_kernel_with_index_grid_strideIiZZZN2at6native15arange_cuda_outERKN3c106ScalarES6_S6_RNS1_6TensorEENKUlvE_clEvENKUlvE6_clEvEUllE_EEvT_T0_PN15function_traitsISD_E11result_typeE
    .private_segment_fixed_size: 0
    .sgpr_count:     26
    .sgpr_spill_count: 0
    .symbol:         _ZN12_GLOBAL__N_141elementwise_kernel_with_index_grid_strideIiZZZN2at6native15arange_cuda_outERKN3c106ScalarES6_S6_RNS1_6TensorEENKUlvE_clEvENKUlvE6_clEvEUllE_EEvT_T0_PN15function_traitsISD_E11result_typeE.kd
    .uniform_work_group_size: 1
    .uses_dynamic_stack: false
    .vgpr_count:     26
    .vgpr_spill_count: 0
    .wavefront_size: 64
  - .agpr_count:     0
    .args:
      - .offset:         0
        .size:           8
        .value_kind:     by_value
      - .offset:         8
        .size:           8
        .value_kind:     by_value
      - .address_space:  global
        .offset:         16
        .size:           8
        .value_kind:     global_buffer
      - .offset:         24
        .size:           4
        .value_kind:     hidden_block_count_x
      - .offset:         28
        .size:           4
        .value_kind:     hidden_block_count_y
      - .offset:         32
        .size:           4
        .value_kind:     hidden_block_count_z
      - .offset:         36
        .size:           2
        .value_kind:     hidden_group_size_x
      - .offset:         38
        .size:           2
        .value_kind:     hidden_group_size_y
      - .offset:         40
        .size:           2
        .value_kind:     hidden_group_size_z
      - .offset:         42
        .size:           2
        .value_kind:     hidden_remainder_x
      - .offset:         44
        .size:           2
        .value_kind:     hidden_remainder_y
      - .offset:         46
        .size:           2
        .value_kind:     hidden_remainder_z
      - .offset:         64
        .size:           8
        .value_kind:     hidden_global_offset_x
      - .offset:         72
        .size:           8
        .value_kind:     hidden_global_offset_y
      - .offset:         80
        .size:           8
        .value_kind:     hidden_global_offset_z
      - .offset:         88
        .size:           2
        .value_kind:     hidden_grid_dims
    .group_segment_fixed_size: 0
    .kernarg_segment_align: 8
    .kernarg_segment_size: 280
    .language:       OpenCL C
    .language_version:
      - 2
      - 0
    .max_flat_workgroup_size: 128
    .name:           _ZN12_GLOBAL__N_141elementwise_kernel_with_index_grid_strideIlZZZN2at6native15arange_cuda_outERKN3c106ScalarES6_S6_RNS1_6TensorEENKUlvE_clEvENKUlvE6_clEvEUllE_EEvT_T0_PN15function_traitsISD_E11result_typeE
    .private_segment_fixed_size: 0
    .sgpr_count:     38
    .sgpr_spill_count: 0
    .symbol:         _ZN12_GLOBAL__N_141elementwise_kernel_with_index_grid_strideIlZZZN2at6native15arange_cuda_outERKN3c106ScalarES6_S6_RNS1_6TensorEENKUlvE_clEvENKUlvE6_clEvEUllE_EEvT_T0_PN15function_traitsISD_E11result_typeE.kd
    .uniform_work_group_size: 1
    .uses_dynamic_stack: false
    .vgpr_count:     40
    .vgpr_spill_count: 0
    .wavefront_size: 64
  - .agpr_count:     0
    .args:
      - .offset:         0
        .size:           4
        .value_kind:     by_value
      - .offset:         4
        .size:           8
        .value_kind:     by_value
      - .address_space:  global
        .offset:         16
        .size:           8
        .value_kind:     global_buffer
      - .offset:         24
        .size:           4
        .value_kind:     hidden_block_count_x
      - .offset:         28
        .size:           4
        .value_kind:     hidden_block_count_y
      - .offset:         32
        .size:           4
        .value_kind:     hidden_block_count_z
      - .offset:         36
        .size:           2
        .value_kind:     hidden_group_size_x
      - .offset:         38
        .size:           2
        .value_kind:     hidden_group_size_y
      - .offset:         40
        .size:           2
        .value_kind:     hidden_group_size_z
      - .offset:         42
        .size:           2
        .value_kind:     hidden_remainder_x
      - .offset:         44
        .size:           2
        .value_kind:     hidden_remainder_y
      - .offset:         46
        .size:           2
        .value_kind:     hidden_remainder_z
      - .offset:         64
        .size:           8
        .value_kind:     hidden_global_offset_x
      - .offset:         72
        .size:           8
        .value_kind:     hidden_global_offset_y
      - .offset:         80
        .size:           8
        .value_kind:     hidden_global_offset_z
      - .offset:         88
        .size:           2
        .value_kind:     hidden_grid_dims
    .group_segment_fixed_size: 0
    .kernarg_segment_align: 8
    .kernarg_segment_size: 280
    .language:       OpenCL C
    .language_version:
      - 2
      - 0
    .max_flat_workgroup_size: 128
    .name:           _ZN12_GLOBAL__N_141elementwise_kernel_with_index_grid_strideIiZZZN2at6native15arange_cuda_outERKN3c106ScalarES6_S6_RNS1_6TensorEENKUlvE_clEvENKUlvE7_clEvEUllE_EEvT_T0_PN15function_traitsISD_E11result_typeE
    .private_segment_fixed_size: 0
    .sgpr_count:     31
    .sgpr_spill_count: 0
    .symbol:         _ZN12_GLOBAL__N_141elementwise_kernel_with_index_grid_strideIiZZZN2at6native15arange_cuda_outERKN3c106ScalarES6_S6_RNS1_6TensorEENKUlvE_clEvENKUlvE7_clEvEUllE_EEvT_T0_PN15function_traitsISD_E11result_typeE.kd
    .uniform_work_group_size: 1
    .uses_dynamic_stack: false
    .vgpr_count:     29
    .vgpr_spill_count: 0
    .wavefront_size: 64
  - .agpr_count:     0
    .args:
      - .offset:         0
        .size:           8
        .value_kind:     by_value
      - .offset:         8
        .size:           8
        .value_kind:     by_value
      - .address_space:  global
        .offset:         16
        .size:           8
        .value_kind:     global_buffer
      - .offset:         24
        .size:           4
        .value_kind:     hidden_block_count_x
      - .offset:         28
        .size:           4
        .value_kind:     hidden_block_count_y
      - .offset:         32
        .size:           4
        .value_kind:     hidden_block_count_z
      - .offset:         36
        .size:           2
        .value_kind:     hidden_group_size_x
      - .offset:         38
        .size:           2
        .value_kind:     hidden_group_size_y
      - .offset:         40
        .size:           2
        .value_kind:     hidden_group_size_z
      - .offset:         42
        .size:           2
        .value_kind:     hidden_remainder_x
      - .offset:         44
        .size:           2
        .value_kind:     hidden_remainder_y
      - .offset:         46
        .size:           2
        .value_kind:     hidden_remainder_z
      - .offset:         64
        .size:           8
        .value_kind:     hidden_global_offset_x
      - .offset:         72
        .size:           8
        .value_kind:     hidden_global_offset_y
      - .offset:         80
        .size:           8
        .value_kind:     hidden_global_offset_z
      - .offset:         88
        .size:           2
        .value_kind:     hidden_grid_dims
    .group_segment_fixed_size: 0
    .kernarg_segment_align: 8
    .kernarg_segment_size: 280
    .language:       OpenCL C
    .language_version:
      - 2
      - 0
    .max_flat_workgroup_size: 128
    .name:           _ZN12_GLOBAL__N_141elementwise_kernel_with_index_grid_strideIlZZZN2at6native15arange_cuda_outERKN3c106ScalarES6_S6_RNS1_6TensorEENKUlvE_clEvENKUlvE7_clEvEUllE_EEvT_T0_PN15function_traitsISD_E11result_typeE
    .private_segment_fixed_size: 0
    .sgpr_count:     44
    .sgpr_spill_count: 0
    .symbol:         _ZN12_GLOBAL__N_141elementwise_kernel_with_index_grid_strideIlZZZN2at6native15arange_cuda_outERKN3c106ScalarES6_S6_RNS1_6TensorEENKUlvE_clEvENKUlvE7_clEvEUllE_EEvT_T0_PN15function_traitsISD_E11result_typeE.kd
    .uniform_work_group_size: 1
    .uses_dynamic_stack: false
    .vgpr_count:     41
    .vgpr_spill_count: 0
    .wavefront_size: 64
amdhsa.target:   amdgcn-amd-amdhsa--gfx950
amdhsa.version:
  - 1
  - 2
...

	.end_amdgpu_metadata
